;; amdgpu-corpus repo=ROCm/rocFFT kind=compiled arch=gfx950 opt=O3
	.text
	.amdgcn_target "amdgcn-amd-amdhsa--gfx950"
	.amdhsa_code_object_version 6
	.protected	bluestein_single_back_len728_dim1_sp_op_CI_CI ; -- Begin function bluestein_single_back_len728_dim1_sp_op_CI_CI
	.globl	bluestein_single_back_len728_dim1_sp_op_CI_CI
	.p2align	8
	.type	bluestein_single_back_len728_dim1_sp_op_CI_CI,@function
bluestein_single_back_len728_dim1_sp_op_CI_CI: ; @bluestein_single_back_len728_dim1_sp_op_CI_CI
; %bb.0:
	s_load_dwordx4 s[12:15], s[0:1], 0x28
	v_mul_u32_u24_e32 v1, 0x277, v0
	v_add_u32_sdwa v52, s2, v1 dst_sel:DWORD dst_unused:UNUSED_PAD src0_sel:DWORD src1_sel:WORD_1
	v_mov_b32_e32 v53, 0
	s_waitcnt lgkmcnt(0)
	v_cmp_gt_u64_e32 vcc, s[12:13], v[52:53]
	s_and_saveexec_b64 s[2:3], vcc
	s_cbranch_execz .LBB0_23
; %bb.1:
	s_load_dwordx2 s[12:13], s[0:1], 0x0
	s_load_dwordx2 s[16:17], s[0:1], 0x38
	s_movk_i32 s2, 0x68
	v_mul_lo_u16_sdwa v1, v1, s2 dst_sel:DWORD dst_unused:UNUSED_PAD src0_sel:WORD_1 src1_sel:DWORD
	v_sub_u16_e32 v53, v0, v1
	v_cmp_gt_u16_e64 s[6:7], 56, v53
	v_lshlrev_b32_e32 v50, 3, v53
	s_and_saveexec_b64 s[2:3], s[6:7]
	s_cbranch_execz .LBB0_3
; %bb.2:
	s_load_dwordx2 s[4:5], s[0:1], 0x18
	v_mov_b32_e32 v0, s14
	v_mov_b32_e32 v1, s15
	;; [unrolled: 1-line block ×3, first 2 shown]
	v_or_b32_e32 v37, 0x1c0, v53
	s_waitcnt lgkmcnt(0)
	s_load_dwordx4 s[8:11], s[4:5], 0x0
	s_waitcnt lgkmcnt(0)
	v_mad_u64_u32 v[2:3], s[4:5], s10, v52, 0
	v_mad_u64_u32 v[4:5], s[4:5], s8, v53, 0
	v_mov_b32_e32 v6, v3
	v_mov_b32_e32 v8, v5
	v_mad_u64_u32 v[6:7], s[4:5], s11, v52, v[6:7]
	v_mov_b32_e32 v3, v6
	v_mad_u64_u32 v[6:7], s[4:5], s9, v53, v[8:9]
	v_mov_b32_e32 v5, v6
	v_lshl_add_u64 v[0:1], v[2:3], 3, v[0:1]
	v_lshl_add_u64 v[2:3], v[4:5], 3, v[0:1]
	v_lshl_add_u64 v[6:7], s[12:13], 0, v[50:51]
	v_mov_b32_e32 v51, 0x1c0
	global_load_dwordx2 v[4:5], v[2:3], off
	v_mad_u64_u32 v[2:3], s[4:5], s8, v51, v[2:3]
	s_mul_i32 s10, s9, 0x1c0
	v_add_u32_e32 v3, s10, v3
	v_mad_u64_u32 v[10:11], s[4:5], s8, v51, v[2:3]
	v_add_u32_e32 v11, s10, v11
	v_mad_u64_u32 v[12:13], s[4:5], s8, v51, v[10:11]
	;; [unrolled: 2-line block ×3, first 2 shown]
	v_add_u32_e32 v15, s10, v15
	global_load_dwordx2 v[8:9], v50, s[12:13]
	global_load_dwordx2 v[16:17], v[2:3], off
	global_load_dwordx2 v[18:19], v[10:11], off
	;; [unrolled: 1-line block ×4, first 2 shown]
	global_load_dwordx2 v[24:25], v50, s[12:13] offset:448
	global_load_dwordx2 v[26:27], v50, s[12:13] offset:896
	;; [unrolled: 1-line block ×4, first 2 shown]
	v_mad_u64_u32 v[2:3], s[4:5], s8, v51, v[14:15]
	v_add_u32_e32 v3, s10, v3
	v_mad_u64_u32 v[34:35], s[4:5], s8, v37, 0
	global_load_dwordx2 v[10:11], v[2:3], off
	global_load_dwordx2 v[12:13], v50, s[12:13] offset:2240
	v_mad_u64_u32 v[2:3], s[4:5], s8, v51, v[2:3]
	v_mov_b32_e32 v36, v35
	v_add_u32_e32 v3, s10, v3
	v_mad_u64_u32 v[36:37], s[4:5], s9, v37, v[36:37]
	global_load_dwordx2 v[14:15], v[2:3], off
	v_mad_u64_u32 v[2:3], s[4:5], s8, v51, v[2:3]
	v_mov_b32_e32 v35, v36
	v_add_u32_e32 v3, s10, v3
	v_lshl_add_u64 v[0:1], v[34:35], 3, v[0:1]
	global_load_dwordx2 v[32:33], v[2:3], off
	global_load_dwordx2 v[34:35], v[0:1], off
	global_load_dwordx2 v[36:37], v50, s[12:13] offset:2688
	global_load_dwordx2 v[38:39], v50, s[12:13] offset:3136
	global_load_dwordx2 v[40:41], v50, s[12:13] offset:3584
	v_mov_b32_e32 v0, 0x380
	v_mad_u64_u32 v[0:1], s[4:5], s8, v0, v[2:3]
	s_mul_i32 s4, s9, 0x380
	s_nop 0
	v_add_u32_e32 v1, s4, v1
	global_load_dwordx2 v[2:3], v[0:1], off
	global_load_dwordx2 v[42:43], v50, s[12:13] offset:4032
	v_mad_u64_u32 v[0:1], s[4:5], s8, v51, v[0:1]
	v_add_u32_e32 v1, s10, v1
	s_movk_i32 s4, 0x1000
	global_load_dwordx2 v[44:45], v[0:1], off
	v_add_co_u32_e32 v6, vcc, s4, v6
	v_mad_u64_u32 v[0:1], s[4:5], s8, v51, v[0:1]
	s_nop 0
	v_addc_co_u32_e32 v7, vcc, 0, v7, vcc
	v_add_u32_e32 v1, s10, v1
	global_load_dwordx2 v[46:47], v[6:7], off offset:384
	global_load_dwordx2 v[48:49], v[0:1], off
	global_load_dwordx2 v[54:55], v[6:7], off offset:832
	v_mad_u64_u32 v[0:1], s[4:5], s8, v51, v[0:1]
	v_add_u32_e32 v1, s10, v1
	global_load_dwordx2 v[56:57], v[6:7], off offset:1280
	global_load_dwordx2 v[58:59], v[0:1], off
	v_add_u32_e32 v6, 0x400, v50
	s_waitcnt vmcnt(24)
	v_mul_f32_e32 v0, v5, v9
	v_mul_f32_e32 v1, v4, v9
	v_fmac_f32_e32 v0, v4, v8
	v_fma_f32 v1, v5, v8, -v1
	s_waitcnt vmcnt(19)
	v_mul_f32_e32 v4, v17, v25
	v_mul_f32_e32 v5, v16, v25
	v_fmac_f32_e32 v4, v16, v24
	v_fma_f32 v5, v17, v24, -v5
	ds_write2_b64 v50, v[0:1], v[4:5] offset1:56
	s_waitcnt vmcnt(18)
	v_mul_f32_e32 v0, v19, v27
	v_mul_f32_e32 v1, v18, v27
	s_waitcnt vmcnt(17)
	v_mul_f32_e32 v4, v21, v29
	v_mul_f32_e32 v5, v20, v29
	v_fmac_f32_e32 v0, v18, v26
	v_fma_f32 v1, v19, v26, -v1
	v_fmac_f32_e32 v4, v20, v28
	v_fma_f32 v5, v21, v28, -v5
	ds_write2_b64 v50, v[0:1], v[4:5] offset0:112 offset1:168
	s_waitcnt vmcnt(16)
	v_mul_f32_e32 v0, v23, v31
	v_mul_f32_e32 v1, v22, v31
	s_waitcnt vmcnt(14)
	v_mul_f32_e32 v4, v11, v13
	v_mul_f32_e32 v5, v10, v13
	v_fmac_f32_e32 v0, v22, v30
	v_fma_f32 v1, v23, v30, -v1
	v_fmac_f32_e32 v4, v10, v12
	v_fma_f32 v5, v11, v12, -v5
	ds_write2_b64 v6, v[0:1], v[4:5] offset0:96 offset1:152
	s_waitcnt vmcnt(10)
	v_mul_f32_e32 v0, v15, v37
	v_mul_f32_e32 v1, v14, v37
	s_waitcnt vmcnt(9)
	v_mul_f32_e32 v4, v33, v39
	v_mul_f32_e32 v5, v32, v39
	v_fmac_f32_e32 v0, v14, v36
	v_fma_f32 v1, v15, v36, -v1
	v_fmac_f32_e32 v4, v32, v38
	v_fma_f32 v5, v33, v38, -v5
	v_add_u32_e32 v6, 0x800, v50
	ds_write2_b64 v6, v[0:1], v[4:5] offset0:80 offset1:136
	s_waitcnt vmcnt(6)
	v_mul_f32_e32 v4, v3, v43
	v_mul_f32_e32 v0, v35, v41
	;; [unrolled: 1-line block ×3, first 2 shown]
	v_fmac_f32_e32 v4, v2, v42
	v_mul_f32_e32 v2, v2, v43
	v_fmac_f32_e32 v0, v34, v40
	v_fma_f32 v1, v35, v40, -v1
	v_fma_f32 v5, v3, v42, -v2
	ds_write2_b64 v6, v[0:1], v[4:5] offset0:192 offset1:248
	s_waitcnt vmcnt(4)
	v_mul_f32_e32 v0, v45, v47
	v_mul_f32_e32 v1, v44, v47
	s_waitcnt vmcnt(2)
	v_mul_f32_e32 v2, v49, v55
	v_mul_f32_e32 v3, v48, v55
	v_fmac_f32_e32 v0, v44, v46
	v_fma_f32 v1, v45, v46, -v1
	v_fmac_f32_e32 v2, v48, v54
	v_fma_f32 v3, v49, v54, -v3
	v_add_u32_e32 v4, 0x1000, v50
	ds_write2_b64 v4, v[0:1], v[2:3] offset0:48 offset1:104
	s_waitcnt vmcnt(0)
	v_mul_f32_e32 v0, v59, v57
	v_mul_f32_e32 v1, v58, v57
	v_fmac_f32_e32 v0, v58, v56
	v_fma_f32 v1, v59, v56, -v1
	ds_write_b64 v50, v[0:1] offset:5376
.LBB0_3:
	s_or_b64 exec, exec, s[2:3]
	s_load_dwordx2 s[2:3], s[0:1], 0x20
	s_load_dwordx2 s[14:15], s[0:1], 0x8
	v_mov_b64_e32 v[0:1], 0
	s_waitcnt lgkmcnt(0)
	s_barrier
	s_waitcnt lgkmcnt(0)
                                        ; implicit-def: $vgpr6
                                        ; implicit-def: $vgpr16
                                        ; implicit-def: $vgpr10
                                        ; implicit-def: $vgpr24
                                        ; implicit-def: $vgpr22
                                        ; implicit-def: $vgpr32
	s_and_saveexec_b64 s[0:1], s[6:7]
	s_cbranch_execz .LBB0_5
; %bb.4:
	v_add_u32_e32 v4, 0x400, v50
	v_add_u32_e32 v12, 0x800, v50
	ds_read2_b64 v[0:3], v50 offset1:56
	ds_read2_b64 v[20:23], v50 offset0:112 offset1:168
	ds_read2_b64 v[8:11], v4 offset0:96 offset1:152
	;; [unrolled: 1-line block ×4, first 2 shown]
	v_add_u32_e32 v12, 0x1000, v50
	ds_read2_b64 v[24:27], v12 offset0:48 offset1:104
	ds_read_b64 v[32:33], v50 offset:5376
.LBB0_5:
	s_or_b64 exec, exec, s[0:1]
	s_waitcnt lgkmcnt(0)
	v_pk_add_f32 v[66:67], v[2:3], v[32:33] neg_lo:[0,1] neg_hi:[0,1]
	s_mov_b32 s18, 0xbf7e222b
	v_pk_add_f32 v[34:35], v[32:33], v[2:3]
	s_mov_b32 s0, 0x3df6dbef
	v_pk_mul_f32 v[12:13], v[66:67], s[18:19] op_sel_hi:[1,0]
	s_mov_b32 s20, 0xbf52af12
	v_pk_fma_f32 v[38:39], v[34:35], s[0:1], v[12:13] op_sel:[0,0,1] op_sel_hi:[1,0,0]
	v_pk_fma_f32 v[36:37], v[34:35], s[0:1], v[12:13] op_sel:[0,0,1] op_sel_hi:[1,0,0] neg_lo:[0,0,1] neg_hi:[0,0,1]
	v_pk_add_f32 v[70:71], v[20:21], v[26:27] neg_lo:[0,1] neg_hi:[0,1]
	s_mov_b32 s8, 0xbf6f5d39
	s_mov_b32 s10, 0x3f116cb1
	v_pk_mul_f32 v[12:13], v[66:67], s[20:21] op_sel_hi:[1,0]
	v_pk_add_f32 v[68:69], v[26:27], v[20:21]
	s_mov_b32 s4, 0xbeb58ec6
	v_pk_fma_f32 v[42:43], v[34:35], s[10:11], v[12:13] op_sel:[0,0,1] op_sel_hi:[1,0,0]
	v_pk_fma_f32 v[40:41], v[34:35], s[10:11], v[12:13] op_sel:[0,0,1] op_sel_hi:[1,0,0] neg_lo:[0,0,1] neg_hi:[0,0,1]
	v_pk_mul_f32 v[28:29], v[70:71], s[8:9] op_sel:[1,0] op_sel_hi:[0,0]
	v_mov_b32_e32 v12, v42
	v_mov_b32_e32 v13, v41
	v_pk_fma_f32 v[54:55], v[68:69], s[4:5], v[28:29] op_sel_hi:[1,0,1]
	v_pk_fma_f32 v[48:49], v[68:69], s[4:5], v[28:29] op_sel_hi:[1,0,1] neg_lo:[0,0,1] neg_hi:[0,0,1]
	v_pk_add_f32 v[12:13], v[12:13], v[0:1]
	v_mov_b32_e32 v28, v54
	v_mov_b32_e32 v29, v49
	s_mov_b32 s24, 0xbe750f2a
	v_pk_add_f32 v[12:13], v[28:29], v[12:13]
	s_mov_b32 s22, 0xbf788fa5
	v_pk_mul_f32 v[28:29], v[70:71], s[24:25] op_sel:[1,0] op_sel_hi:[0,0]
	v_mov_b32_e32 v14, v38
	v_mov_b32_e32 v15, v37
	v_pk_fma_f32 v[44:45], v[68:69], s[22:23], v[28:29] op_sel_hi:[1,0,1]
	v_pk_fma_f32 v[46:47], v[68:69], s[22:23], v[28:29] op_sel_hi:[1,0,1] neg_lo:[0,0,1] neg_hi:[0,0,1]
	v_pk_add_f32 v[14:15], v[14:15], v[0:1]
	v_mov_b32_e32 v28, v44
	v_mov_b32_e32 v29, v47
	v_pk_add_f32 v[148:149], v[22:23], v[24:25] neg_lo:[0,1] neg_hi:[0,1]
	v_pk_add_f32 v[76:77], v[24:25], v[22:23]
	v_pk_add_f32 v[14:15], v[28:29], v[14:15]
	v_pk_mul_f32 v[28:29], v[148:149], s[24:25] op_sel:[1,0] op_sel_hi:[0,0]
	v_pk_fma_f32 v[62:63], v[76:77], s[22:23], v[28:29] op_sel_hi:[1,0,1]
	v_pk_fma_f32 v[64:65], v[76:77], s[22:23], v[28:29] op_sel_hi:[1,0,1] neg_lo:[0,0,1] neg_hi:[0,0,1]
	v_mov_b32_e32 v28, v62
	v_mov_b32_e32 v29, v65
	s_mov_b32 s26, 0x3f6f5d39
	v_pk_add_f32 v[12:13], v[28:29], v[12:13]
	v_pk_mul_f32 v[28:29], v[148:149], s[26:27] op_sel:[1,0] op_sel_hi:[0,0]
	v_pk_fma_f32 v[58:59], v[76:77], s[4:5], v[28:29] op_sel_hi:[1,0,1]
	v_pk_fma_f32 v[60:61], v[76:77], s[4:5], v[28:29] op_sel_hi:[1,0,1] neg_lo:[0,0,1] neg_hi:[0,0,1]
	v_mov_b32_e32 v28, v58
	v_mov_b32_e32 v29, v61
	s_mov_b32 s38, 0x3f29c268
	v_pk_add_f32 v[150:151], v[8:9], v[18:19] neg_lo:[0,1] neg_hi:[0,1]
	v_pk_add_f32 v[14:15], v[28:29], v[14:15]
	s_mov_b32 s26, 0xbf3f9e67
	v_pk_add_f32 v[152:153], v[18:19], v[8:9]
	v_pk_mul_f32 v[28:29], v[150:151], s[38:39] op_sel:[1,0] op_sel_hi:[0,0]
	v_pk_fma_f32 v[78:79], v[152:153], s[26:27], v[28:29] op_sel_hi:[1,0,1]
	v_pk_fma_f32 v[80:81], v[152:153], s[26:27], v[28:29] op_sel_hi:[1,0,1] neg_lo:[0,0,1] neg_hi:[0,0,1]
	v_mov_b32_e32 v28, v78
	v_mov_b32_e32 v29, v81
	s_mov_b32 s34, 0x3eedf032
	v_pk_add_f32 v[12:13], v[28:29], v[12:13]
	s_mov_b32 s30, 0x3f62ad3f
	v_pk_mul_f32 v[28:29], v[150:151], s[34:35] op_sel:[1,0] op_sel_hi:[0,0]
	v_pk_fma_f32 v[72:73], v[152:153], s[30:31], v[28:29] op_sel_hi:[1,0,1]
	v_pk_fma_f32 v[74:75], v[152:153], s[30:31], v[28:29] op_sel_hi:[1,0,1] neg_lo:[0,0,1] neg_hi:[0,0,1]
	v_mov_b32_e32 v28, v72
	v_mov_b32_e32 v29, v75
	s_mov_b32 s28, 0x3f7e222b
	v_pk_add_f32 v[154:155], v[10:11], v[16:17] neg_lo:[0,1] neg_hi:[0,1]
	v_pk_add_f32 v[14:15], v[28:29], v[14:15]
	v_pk_add_f32 v[156:157], v[16:17], v[10:11]
	v_pk_mul_f32 v[28:29], v[154:155], s[28:29] op_sel:[1,0] op_sel_hi:[0,0]
	v_pk_fma_f32 v[86:87], v[156:157], s[0:1], v[28:29] op_sel_hi:[1,0,1]
	v_pk_fma_f32 v[88:89], v[156:157], s[0:1], v[28:29] op_sel_hi:[1,0,1] neg_lo:[0,0,1] neg_hi:[0,0,1]
	v_mov_b32_e32 v28, v86
	v_mov_b32_e32 v29, v89
	v_pk_add_f32 v[12:13], v[28:29], v[12:13]
	v_pk_mul_f32 v[28:29], v[154:155], s[20:21] op_sel:[1,0] op_sel_hi:[0,0]
	v_pk_fma_f32 v[82:83], v[156:157], s[10:11], v[28:29] op_sel_hi:[1,0,1]
	v_pk_fma_f32 v[84:85], v[156:157], s[10:11], v[28:29] op_sel_hi:[1,0,1] neg_lo:[0,0,1] neg_hi:[0,0,1]
	v_mov_b32_e32 v28, v82
	v_mov_b32_e32 v29, v85
	v_pk_add_f32 v[158:159], v[4:5], v[6:7] neg_lo:[0,1] neg_hi:[0,1]
	v_pk_add_f32 v[28:29], v[28:29], v[14:15]
	v_pk_add_f32 v[160:161], v[6:7], v[4:5]
	v_pk_mul_f32 v[14:15], v[158:159], s[34:35] op_sel:[1,0] op_sel_hi:[0,0]
	v_pk_fma_f32 v[104:105], v[160:161], s[30:31], v[14:15] op_sel_hi:[1,0,1]
	v_pk_fma_f32 v[106:107], v[160:161], s[30:31], v[14:15] op_sel_hi:[1,0,1] neg_lo:[0,0,1] neg_hi:[0,0,1]
	s_mov_b32 s36, 0xbf29c268
	v_mov_b32_e32 v14, v104
	v_mov_b32_e32 v15, v107
	v_pk_add_f32 v[14:15], v[14:15], v[12:13]
	v_pk_mul_f32 v[12:13], v[158:159], s[36:37] op_sel:[1,0] op_sel_hi:[0,0]
	v_pk_fma_f32 v[96:97], v[160:161], s[26:27], v[12:13] op_sel_hi:[1,0,1]
	v_pk_fma_f32 v[98:99], v[160:161], s[26:27], v[12:13] op_sel_hi:[1,0,1] neg_lo:[0,0,1] neg_hi:[0,0,1]
	v_mov_b32_e32 v12, v96
	v_mov_b32_e32 v13, v99
	v_pk_add_f32 v[12:13], v[12:13], v[28:29]
	v_pk_mul_f32 v[28:29], v[66:67], s[8:9] op_sel_hi:[1,0]
	s_mov_b32 s40, 0xbeedf032
	v_pk_fma_f32 v[132:133], v[34:35], s[4:5], v[28:29] op_sel:[0,0,1] op_sel_hi:[1,0,0]
	v_pk_fma_f32 v[94:95], v[34:35], s[4:5], v[28:29] op_sel:[0,0,1] op_sel_hi:[1,0,0] neg_lo:[0,0,1] neg_hi:[0,0,1]
	v_pk_mul_f32 v[28:29], v[70:71], s[38:39] op_sel:[1,0] op_sel_hi:[0,0]
	v_pk_fma_f32 v[134:135], v[68:69], s[26:27], v[28:29] op_sel_hi:[1,0,1]
	v_pk_fma_f32 v[100:101], v[68:69], s[26:27], v[28:29] op_sel_hi:[1,0,1] neg_lo:[0,0,1] neg_hi:[0,0,1]
	v_mov_b32_e32 v28, v132
	v_mov_b32_e32 v29, v95
	v_pk_add_f32 v[28:29], v[28:29], v[0:1]
	v_mov_b32_e32 v30, v134
	v_mov_b32_e32 v31, v101
	v_pk_add_f32 v[28:29], v[30:31], v[28:29]
	v_pk_mul_f32 v[30:31], v[70:71], s[28:29] op_sel:[1,0] op_sel_hi:[0,0]
	v_pk_fma_f32 v[140:141], v[68:69], s[0:1], v[30:31] op_sel_hi:[1,0,1]
	v_pk_fma_f32 v[90:91], v[68:69], s[0:1], v[30:31] op_sel_hi:[1,0,1] neg_lo:[0,0,1] neg_hi:[0,0,1]
	v_pk_mul_f32 v[30:31], v[66:67], s[36:37] op_sel_hi:[1,0]
	v_mov_b32_e32 v56, v140
	v_pk_fma_f32 v[142:143], v[34:35], s[26:27], v[30:31] op_sel:[0,0,1] op_sel_hi:[1,0,0]
	v_pk_fma_f32 v[92:93], v[34:35], s[26:27], v[30:31] op_sel:[0,0,1] op_sel_hi:[1,0,0] neg_lo:[0,0,1] neg_hi:[0,0,1]
	v_mov_b32_e32 v30, v142
	v_mov_b32_e32 v31, v93
	v_pk_add_f32 v[30:31], v[30:31], v[0:1]
	v_mov_b32_e32 v57, v91
	v_pk_add_f32 v[30:31], v[56:57], v[30:31]
	v_pk_mul_f32 v[56:57], v[148:149], s[34:35] op_sel:[1,0] op_sel_hi:[0,0]
	v_pk_fma_f32 v[108:109], v[76:77], s[30:31], v[56:57] op_sel_hi:[1,0,1]
	v_pk_fma_f32 v[110:111], v[76:77], s[30:31], v[56:57] op_sel_hi:[1,0,1] neg_lo:[0,0,1] neg_hi:[0,0,1]
	v_mov_b32_e32 v56, v108
	v_mov_b32_e32 v57, v111
	v_pk_add_f32 v[28:29], v[56:57], v[28:29]
	v_pk_mul_f32 v[56:57], v[148:149], s[20:21] op_sel:[1,0] op_sel_hi:[0,0]
	v_pk_fma_f32 v[146:147], v[76:77], s[10:11], v[56:57] op_sel_hi:[1,0,1]
	v_pk_fma_f32 v[102:103], v[76:77], s[10:11], v[56:57] op_sel_hi:[1,0,1] neg_lo:[0,0,1] neg_hi:[0,0,1]
	v_mov_b32_e32 v56, v146
	;; [unrolled: 6-line block ×3, first 2 shown]
	v_mov_b32_e32 v57, v119
	s_mov_b32 s38, 0x3e750f2a
	v_pk_add_f32 v[28:29], v[56:57], v[28:29]
	v_pk_mul_f32 v[56:57], v[150:151], s[38:39] op_sel:[1,0] op_sel_hi:[0,0]
	v_pk_fma_f32 v[112:113], v[152:153], s[22:23], v[56:57] op_sel_hi:[1,0,1]
	v_pk_fma_f32 v[114:115], v[152:153], s[22:23], v[56:57] op_sel_hi:[1,0,1] neg_lo:[0,0,1] neg_hi:[0,0,1]
	v_mov_b32_e32 v56, v112
	v_mov_b32_e32 v57, v115
	v_pk_add_f32 v[30:31], v[56:57], v[30:31]
	v_pk_mul_f32 v[56:57], v[154:155], s[38:39] op_sel:[1,0] op_sel_hi:[0,0]
	v_pk_fma_f32 v[124:125], v[156:157], s[22:23], v[56:57] op_sel_hi:[1,0,1]
	v_pk_fma_f32 v[126:127], v[156:157], s[22:23], v[56:57] op_sel_hi:[1,0,1] neg_lo:[0,0,1] neg_hi:[0,0,1]
	v_mov_b32_e32 v56, v124
	v_mov_b32_e32 v57, v127
	;; [unrolled: 6-line block ×3, first 2 shown]
	s_mov_b32 s38, 0x3f52af12
	v_pk_add_f32 v[56:57], v[56:57], v[30:31]
	v_pk_mul_f32 v[30:31], v[158:159], s[38:39] op_sel:[1,0] op_sel_hi:[0,0]
	v_pk_fma_f32 v[136:137], v[160:161], s[10:11], v[30:31] op_sel_hi:[1,0,1]
	v_pk_fma_f32 v[138:139], v[160:161], s[10:11], v[30:31] op_sel_hi:[1,0,1] neg_lo:[0,0,1] neg_hi:[0,0,1]
	v_mov_b32_e32 v30, v136
	v_mov_b32_e32 v31, v139
	v_pk_add_f32 v[30:31], v[30:31], v[28:29]
	v_pk_mul_f32 v[28:29], v[158:159], s[8:9] op_sel:[1,0] op_sel_hi:[0,0]
	v_pk_fma_f32 v[128:129], v[160:161], s[4:5], v[28:29] op_sel_hi:[1,0,1]
	v_pk_fma_f32 v[130:131], v[160:161], s[4:5], v[28:29] op_sel_hi:[1,0,1] neg_lo:[0,0,1] neg_hi:[0,0,1]
	v_mov_b32_e32 v28, v128
	v_mov_b32_e32 v29, v131
	v_pk_add_f32 v[28:29], v[28:29], v[56:57]
	v_pk_mul_f32 v[56:57], v[66:67], s[40:41] op_sel_hi:[1,0]
	v_pk_mul_f32 v[144:145], v[70:71], s[20:21] op_sel:[1,0] op_sel_hi:[0,0]
	v_pk_fma_f32 v[164:165], v[34:35], s[30:31], v[56:57] op_sel:[0,0,1] op_sel_hi:[1,0,0]
	v_pk_fma_f32 v[162:163], v[34:35], s[30:31], v[56:57] op_sel:[0,0,1] op_sel_hi:[1,0,0] neg_lo:[0,0,1] neg_hi:[0,0,1]
	v_mov_b32_e32 v56, v164
	v_mov_b32_e32 v57, v163
	v_pk_fma_f32 v[168:169], v[68:69], s[10:11], v[144:145] op_sel_hi:[1,0,1]
	v_pk_fma_f32 v[166:167], v[68:69], s[10:11], v[144:145] op_sel_hi:[1,0,1] neg_lo:[0,0,1] neg_hi:[0,0,1]
	v_pk_add_f32 v[56:57], v[56:57], v[0:1]
	v_mov_b32_e32 v144, v168
	v_mov_b32_e32 v145, v167
	v_pk_add_f32 v[56:57], v[144:145], v[56:57]
	v_pk_mul_f32 v[144:145], v[148:149], s[18:19] op_sel:[1,0] op_sel_hi:[0,0]
	v_pk_fma_f32 v[170:171], v[76:77], s[0:1], v[144:145] op_sel_hi:[1,0,1]
	v_pk_fma_f32 v[172:173], v[76:77], s[0:1], v[144:145] op_sel_hi:[1,0,1] neg_lo:[0,0,1] neg_hi:[0,0,1]
	v_mov_b32_e32 v144, v170
	v_mov_b32_e32 v145, v173
	v_pk_add_f32 v[56:57], v[144:145], v[56:57]
	v_pk_mul_f32 v[144:145], v[150:151], s[8:9] op_sel:[1,0] op_sel_hi:[0,0]
	v_pk_fma_f32 v[174:175], v[152:153], s[4:5], v[144:145] op_sel_hi:[1,0,1]
	v_pk_fma_f32 v[176:177], v[152:153], s[4:5], v[144:145] op_sel_hi:[1,0,1] neg_lo:[0,0,1] neg_hi:[0,0,1]
	;; [unrolled: 6-line block ×4, first 2 shown]
	v_mov_b32_e32 v144, v182
	v_mov_b32_e32 v145, v185
	v_pk_add_f32 v[56:57], v[144:145], v[56:57]
	v_pk_mul_f32 v[144:145], v[66:67], s[24:25] op_sel_hi:[1,0]
	v_mul_lo_u16_e32 v104, 13, v53
	v_pk_fma_f32 v[66:67], v[34:35], s[22:23], v[144:145] op_sel:[0,0,1] op_sel_hi:[1,0,0]
	v_pk_fma_f32 v[144:145], v[34:35], s[22:23], v[144:145] op_sel:[0,0,1] op_sel_hi:[1,0,0] neg_lo:[0,0,1] neg_hi:[0,0,1]
	v_pk_mul_f32 v[34:35], v[70:71], s[34:35] op_sel:[1,0] op_sel_hi:[0,0]
	v_pk_fma_f32 v[70:71], v[68:69], s[30:31], v[34:35] op_sel_hi:[1,0,1]
	v_pk_fma_f32 v[68:69], v[68:69], s[30:31], v[34:35] op_sel_hi:[1,0,1] neg_lo:[0,0,1] neg_hi:[0,0,1]
	v_pk_mul_f32 v[34:35], v[148:149], s[36:37] op_sel:[1,0] op_sel_hi:[0,0]
	v_pk_fma_f32 v[148:149], v[76:77], s[26:27], v[34:35] op_sel_hi:[1,0,1]
	v_pk_fma_f32 v[76:77], v[76:77], s[26:27], v[34:35] op_sel_hi:[1,0,1] neg_lo:[0,0,1] neg_hi:[0,0,1]
	;; [unrolled: 3-line block ×4, first 2 shown]
	v_mov_b32_e32 v34, v66
	v_mov_b32_e32 v35, v145
	;; [unrolled: 1-line block ×4, first 2 shown]
	v_pk_add_f32 v[34:35], v[34:35], v[0:1]
	s_nop 0
	v_pk_add_f32 v[34:35], v[186:187], v[34:35]
	v_mov_b32_e32 v186, v148
	v_mov_b32_e32 v187, v77
	v_pk_add_f32 v[34:35], v[186:187], v[34:35]
	v_mov_b32_e32 v186, v150
	v_mov_b32_e32 v187, v153
	;; [unrolled: 3-line block ×3, first 2 shown]
	v_pk_add_f32 v[34:35], v[186:187], v[34:35]
	v_pk_mul_f32 v[186:187], v[158:159], s[28:29] op_sel:[1,0] op_sel_hi:[0,0]
	v_pk_fma_f32 v[158:159], v[160:161], s[0:1], v[186:187] op_sel_hi:[1,0,1]
	v_pk_fma_f32 v[160:161], v[160:161], s[0:1], v[186:187] op_sel_hi:[1,0,1] neg_lo:[0,0,1] neg_hi:[0,0,1]
	v_mov_b32_e32 v186, v158
	v_mov_b32_e32 v187, v161
	v_pk_add_f32 v[34:35], v[186:187], v[34:35]
	s_barrier
	s_and_saveexec_b64 s[0:1], s[6:7]
	s_cbranch_execz .LBB0_7
; %bb.6:
	v_pk_add_f32 v[2:3], v[2:3], v[0:1]
	v_mov_b32_e32 v163, v165
	v_pk_add_f32 v[2:3], v[20:21], v[2:3]
	v_mov_b32_e32 v167, v169
	;; [unrolled: 2-line block ×5, first 2 shown]
	v_pk_add_f32 v[2:3], v[4:5], v[2:3]
	v_pk_add_f32 v[4:5], v[162:163], v[0:1]
	;; [unrolled: 1-line block ×11, first 2 shown]
	v_mov_b32_e32 v185, v183
	v_pk_add_f32 v[2:3], v[32:33], v[2:3]
	v_pk_add_f32 v[4:5], v[184:185], v[4:5]
	v_lshlrev_b32_e32 v6, 3, v104
	v_mov_b32_e32 v37, v39
	v_mov_b32_e32 v41, v43
	ds_write2_b64 v6, v[2:3], v[4:5] offset1:1
	v_mov_b32_e32 v49, v55
	v_pk_add_f32 v[2:3], v[40:41], v[0:1]
	v_pk_add_f32 v[4:5], v[36:37], v[0:1]
	v_mov_b32_e32 v47, v45
	v_pk_add_f32 v[2:3], v[48:49], v[2:3]
	v_mov_b32_e32 v65, v63
	;; [unrolled: 2-line block ×9, first 2 shown]
	v_mov_b32_e32 v93, v143
	v_mov_b32_e32 v95, v133
	v_pk_add_f32 v[2:3], v[106:107], v[2:3]
	v_pk_add_f32 v[4:5], v[98:99], v[4:5]
	v_mov_b32_e32 v145, v67
	v_mov_b32_e32 v91, v141
	;; [unrolled: 1-line block ×3, first 2 shown]
	ds_write2_b64 v6, v[2:3], v[4:5] offset0:2 offset1:3
	v_pk_add_f32 v[2:3], v[94:95], v[0:1]
	v_pk_add_f32 v[4:5], v[92:93], v[0:1]
	;; [unrolled: 1-line block ×3, first 2 shown]
	v_mov_b32_e32 v69, v71
	v_mov_b32_e32 v103, v147
	v_pk_add_f32 v[2:3], v[100:101], v[2:3]
	v_mov_b32_e32 v111, v109
	v_pk_add_f32 v[4:5], v[90:91], v[4:5]
	v_pk_add_f32 v[0:1], v[68:69], v[0:1]
	v_mov_b32_e32 v77, v149
	v_pk_add_f32 v[2:3], v[110:111], v[2:3]
	v_mov_b32_e32 v119, v117
	;; [unrolled: 2-line block ×10, first 2 shown]
	v_pk_add_f32 v[2:3], v[138:139], v[2:3]
	v_pk_add_f32 v[4:5], v[130:131], v[4:5]
	;; [unrolled: 1-line block ×3, first 2 shown]
	ds_write2_b64 v6, v[2:3], v[4:5] offset0:4 offset1:5
	ds_write2_b64 v6, v[0:1], v[34:35] offset0:6 offset1:7
	;; [unrolled: 1-line block ×4, first 2 shown]
	ds_write_b64 v6, v[56:57] offset:96
.LBB0_7:
	s_or_b64 exec, exec, s[0:1]
	s_movk_i32 s0, 0x4f
	v_mul_lo_u16_sdwa v0, v53, s0 dst_sel:DWORD dst_unused:UNUSED_PAD src0_sel:BYTE_0 src1_sel:DWORD
	v_lshrrev_b16_e32 v51, 10, v0
	v_mul_lo_u16_e32 v0, 13, v51
	v_sub_u16_e32 v0, v53, v0
	v_and_b32_e32 v66, 0xff, v0
	v_mul_u32_u24_e32 v0, 6, v66
	v_lshlrev_b32_e32 v16, 3, v0
	s_load_dwordx4 s[8:11], s[2:3], 0x0
	s_waitcnt lgkmcnt(0)
	s_barrier
	global_load_dwordx4 v[8:11], v16, s[14:15] offset:16
	global_load_dwordx4 v[4:7], v16, s[14:15]
	global_load_dwordx4 v[0:3], v16, s[14:15] offset:32
	v_add_u32_e32 v20, 0x400, v50
	v_add_u32_e32 v24, 0xc00, v50
	ds_read2_b64 v[16:19], v50 offset1:104
	ds_read2_b64 v[20:23], v20 offset0:80 offset1:184
	ds_read2_b64 v[24:27], v24 offset0:32 offset1:136
	ds_read_b64 v[32:33], v50 offset:4992
	s_mov_b32 s2, 0x3f955555
	s_mov_b32 s3, 0x3d64c772
	;; [unrolled: 1-line block ×9, first 2 shown]
	s_waitcnt lgkmcnt(0)
	s_barrier
	s_waitcnt vmcnt(2)
	v_pk_mul_f32 v[36:37], v[22:23], v[8:9] op_sel:[0,1]
	v_mov_b32_e32 v38, v11
	s_waitcnt vmcnt(1)
	v_pk_mul_f32 v[40:41], v[18:19], v[4:5] op_sel:[0,1]
	v_mov_b32_e32 v42, v7
	;; [unrolled: 3-line block ×3, first 2 shown]
	v_pk_fma_f32 v[48:49], v[22:23], v[8:9], v[36:37] op_sel:[0,0,1] op_sel_hi:[1,1,0] neg_lo:[0,0,1] neg_hi:[0,0,1]
	v_pk_fma_f32 v[22:23], v[22:23], v[8:9], v[36:37] op_sel:[0,0,1] op_sel_hi:[1,0,0]
	v_pk_mul_f32 v[36:37], v[24:25], v[38:39] op_sel_hi:[1,0]
	v_pk_fma_f32 v[38:39], v[18:19], v[4:5], v[40:41] op_sel:[0,0,1] op_sel_hi:[1,1,0] neg_lo:[0,0,1] neg_hi:[0,0,1]
	v_pk_fma_f32 v[18:19], v[18:19], v[4:5], v[40:41] op_sel:[0,0,1] op_sel_hi:[1,0,0]
	v_pk_mul_f32 v[40:41], v[20:21], v[42:43] op_sel_hi:[1,0]
	;; [unrolled: 3-line block ×3, first 2 shown]
	v_pk_fma_f32 v[46:47], v[24:25], v[10:11], v[36:37] op_sel:[0,0,1] op_sel_hi:[1,0,0] neg_lo:[0,0,1] neg_hi:[0,0,1]
	v_pk_fma_f32 v[24:25], v[24:25], v[10:11], v[36:37] op_sel:[0,0,1] op_sel_hi:[1,0,0]
	v_mov_b32_e32 v39, v19
	v_pk_fma_f32 v[18:19], v[20:21], v[6:7], v[40:41] op_sel:[0,0,1] op_sel_hi:[1,1,0] neg_lo:[0,0,1] neg_hi:[0,0,1]
	v_pk_fma_f32 v[36:37], v[32:33], v[2:3], v[44:45] op_sel:[0,0,1] op_sel_hi:[1,1,0] neg_lo:[0,0,1] neg_hi:[0,0,1]
	v_pk_fma_f32 v[32:33], v[32:33], v[2:3], v[44:45] op_sel:[0,0,1] op_sel_hi:[1,0,0]
	v_mov_b32_e32 v49, v23
	v_pk_fma_f32 v[20:21], v[20:21], v[6:7], v[40:41] op_sel:[0,0,1] op_sel_hi:[1,0,0]
	v_mov_b32_e32 v22, v23
	v_mov_b32_e32 v41, v42
	;; [unrolled: 1-line block ×5, first 2 shown]
	v_pk_add_f32 v[44:45], v[38:39], v[36:37]
	v_pk_add_f32 v[22:23], v[22:23], v[40:41]
	v_mov_b32_e32 v20, v27
	v_mov_b32_e32 v47, v25
	;; [unrolled: 1-line block ×6, first 2 shown]
	v_sub_f32_e32 v26, v45, v22
	v_pk_add_f32 v[20:21], v[24:25], v[20:21]
	v_mov_b32_e32 v43, v27
	v_mov_b32_e32 v27, v48
	;; [unrolled: 1-line block ×4, first 2 shown]
	v_mul_f32_e32 v45, 0x3f4a47b2, v26
	v_mov_b32_e32 v26, v20
	v_pk_add_f32 v[26:27], v[26:27], v[32:33]
	v_pk_add_f32 v[38:39], v[38:39], v[36:37] neg_lo:[0,1] neg_hi:[0,1]
	v_pk_add_f32 v[18:19], v[18:19], v[42:43] neg_lo:[0,1] neg_hi:[0,1]
	v_pk_add_f32 v[40:41], v[46:47], v[48:49] neg_lo:[0,1] neg_hi:[0,1]
	v_pk_add_f32 v[54:55], v[20:21], v[32:33] neg_lo:[0,1] neg_hi:[0,1]
	v_pk_add_f32 v[32:33], v[20:21], v[26:27]
	v_pk_add_f32 v[62:63], v[26:27], v[22:23]
	;; [unrolled: 1-line block ×3, first 2 shown]
	v_mov_b32_e32 v42, v38
	v_mov_b32_e32 v43, v41
	;; [unrolled: 1-line block ×8, first 2 shown]
	v_pk_add_f32 v[48:49], v[18:19], v[38:39] neg_lo:[0,1] neg_hi:[0,1]
	v_pk_add_f32 v[24:25], v[42:43], v[46:47] neg_lo:[0,1] neg_hi:[0,1]
	v_pk_add_f32 v[42:43], v[36:37], v[38:39]
	v_sub_f32_e32 v19, v44, v27
	v_pk_add_f32 v[36:37], v[16:17], v[32:33]
	v_pk_add_f32 v[20:21], v[22:23], v[20:21] neg_lo:[0,1] neg_hi:[0,1]
	v_mul_f32_e32 v46, 0x3f5ff5aa, v48
	v_pk_add_f32 v[26:27], v[26:27], v[22:23] neg_lo:[0,1] neg_hi:[0,1]
	v_mul_f32_e32 v65, 0x3f4a47b2, v19
	v_mul_f32_e32 v33, 0x3f5ff5aa, v49
	v_xor_b32_e32 v48, 0x80000000, v45
	v_mov_b32_e32 v49, v36
	v_mov_b32_e32 v38, v40
	;; [unrolled: 1-line block ×3, first 2 shown]
	v_pk_mul_f32 v[22:23], v[20:21], s[20:21]
	v_mov_b32_e32 v63, v27
	v_pk_mul_f32 v[16:17], v[54:55], s[4:5]
	v_pk_fma_f32 v[48:49], v[54:55], s[4:5], v[48:49] neg_lo:[1,0,0] neg_hi:[1,0,0]
	v_xor_b32_e32 v32, 0x80000000, v46
	v_pk_add_f32 v[18:19], v[38:39], v[18:19] neg_lo:[0,1] neg_hi:[0,1]
	s_mov_b32 s4, s19
	s_mov_b32 s5, s18
	v_mov_b32_e32 v38, v37
	v_mov_b32_e32 v39, v23
	v_pk_mul_f32 v[60:61], v[24:25], s[18:19]
	v_pk_mul_f32 v[26:27], v[26:27], s[2:3]
	v_xor_b32_e32 v17, 0x80000000, v65
	v_xor_b32_e32 v47, 0x80000000, v33
	v_pk_fma_f32 v[24:25], v[24:25], s[18:19], v[32:33] neg_lo:[1,0,0] neg_hi:[1,0,0]
	v_pk_mul_f32 v[32:33], v[18:19], s[4:5]
	v_pk_fma_f32 v[38:39], v[62:63], s[2:3], v[38:39] neg_lo:[1,0,0] neg_hi:[1,0,0]
	v_pk_mul_f32 v[58:59], v[42:43], s[0:1] op_sel_hi:[1,0]
	v_pk_fma_f32 v[16:17], v[20:21], s[20:21], v[16:17] neg_lo:[1,0,0] neg_hi:[1,0,0]
	v_mov_b32_e32 v20, v38
	v_mov_b32_e32 v21, v49
	;; [unrolled: 1-line block ×4, first 2 shown]
	v_pk_add_f32 v[16:17], v[16:17], v[20:21]
	v_pk_add_f32 v[20:21], v[38:39], v[48:49]
	v_mov_b32_e32 v40, v32
	v_mov_b32_e32 v41, v22
	;; [unrolled: 1-line block ×3, first 2 shown]
	v_pk_add_f32 v[26:27], v[26:27], v[64:65]
	v_mov_b32_e32 v48, v59
	v_pk_add_f32 v[22:23], v[40:41], v[44:45]
	v_mov_b32_e32 v40, v58
	v_mov_b32_e32 v41, v38
	v_pk_add_f32 v[26:27], v[48:49], v[26:27]
	v_pk_fma_f32 v[24:25], v[42:43], s[0:1], v[24:25] op_sel_hi:[1,0,1]
	v_pk_fma_f32 v[18:19], v[18:19], s[4:5], v[46:47] neg_lo:[1,0,0] neg_hi:[1,0,0]
	v_pk_add_f32 v[22:23], v[40:41], v[22:23]
	v_mov_b32_e32 v32, v27
	v_pk_fma_f32 v[18:19], v[42:43], s[0:1], v[18:19] op_sel_hi:[1,0,1]
	v_pk_add_f32 v[38:39], v[26:27], v[32:33]
	v_mov_b32_e32 v32, v20
	v_mov_b32_e32 v33, v23
	;; [unrolled: 1-line block ×4, first 2 shown]
	v_pk_add_f32 v[42:43], v[32:33], v[40:41] neg_lo:[0,1] neg_hi:[0,1]
	v_pk_add_f32 v[44:45], v[18:19], v[16:17]
	v_mov_b32_e32 v32, v16
	v_mov_b32_e32 v16, v27
	v_mov_b32_e32 v27, v19
	v_mov_b32_e32 v33, v21
	v_mov_b32_e32 v40, v18
	v_mov_b32_e32 v41, v25
	v_pk_add_f32 v[46:47], v[16:17], v[26:27] neg_lo:[0,1] neg_hi:[0,1]
	v_mov_b32_e32 v16, v23
	v_pk_add_f32 v[48:49], v[32:33], v[40:41] neg_lo:[0,1] neg_hi:[0,1]
	v_pk_add_f32 v[32:33], v[22:23], v[16:17]
	v_mul_u32_u24_e32 v16, 0x5b, v51
	v_pk_add_f32 v[40:41], v[24:25], v[20:21]
	s_movk_i32 s0, 0x5b
	v_add_lshl_u32 v130, v16, v66, 3
	v_mov_b32_e32 v16, v45
	v_mov_b32_e32 v17, v42
	;; [unrolled: 1-line block ×4, first 2 shown]
	ds_write2_b64 v130, v[16:17], v[18:19] offset0:26 offset1:39
	v_mov_b32_e32 v16, v41
	v_mov_b32_e32 v17, v48
	;; [unrolled: 1-line block ×4, first 2 shown]
	v_cmp_gt_u16_e64 s[2:3], s0, v53
	s_movk_i32 s0, 0x5a
	v_mov_b32_e32 v39, v43
	ds_write2_b64 v130, v[16:17], v[18:19] offset0:52 offset1:65
	v_mov_b32_e32 v16, v46
	v_mov_b32_e32 v17, v32
	v_cmp_lt_u16_e64 s[4:5], s0, v53
	ds_write2_b64 v130, v[36:37], v[38:39] offset1:13
	ds_write_b64 v130, v[16:17] offset:624
	s_waitcnt lgkmcnt(0)
	s_barrier
	s_and_saveexec_b64 s[0:1], s[4:5]
	s_xor_b64 s[0:1], exec, s[0:1]
	s_andn2_saveexec_b64 s[0:1], s[0:1]
	s_cbranch_execz .LBB0_9
; %bb.8:
	v_add_u32_e32 v16, 0x800, v50
	v_add_u32_e32 v20, 0x400, v50
	;; [unrolled: 1-line block ×3, first 2 shown]
	ds_read2_b64 v[36:39], v50 offset1:91
	ds_read2_b64 v[16:19], v16 offset0:108 offset1:199
	ds_read2_b64 v[20:23], v20 offset0:54 offset1:145
	;; [unrolled: 1-line block ×3, first 2 shown]
	s_waitcnt lgkmcnt(3)
	v_mov_b32_e32 v43, v39
	s_waitcnt lgkmcnt(2)
	v_mov_b32_e32 v40, v19
	v_mov_b32_e32 v41, v16
	s_waitcnt lgkmcnt(1)
	v_mov_b32_e32 v44, v23
	;; [unrolled: 3-line block ×3, first 2 shown]
	v_mov_b32_e32 v47, v18
	v_mov_b32_e32 v48, v17
	;; [unrolled: 1-line block ×5, first 2 shown]
.LBB0_9:
	s_or_b64 exec, exec, s[0:1]
	v_add_u32_e32 v16, 0xffffffa5, v53
	v_cndmask_b32_e64 v16, v16, v53, s[2:3]
	v_mul_hi_i32_i24_e32 v17, 56, v16
	v_mul_i32_i24_e32 v16, 56, v16
	v_lshl_add_u64 v[58:59], s[14:15], 0, v[16:17]
	global_load_dwordx4 v[20:23], v[58:59], off offset:624
	global_load_dwordx4 v[24:27], v[58:59], off offset:640
	;; [unrolled: 1-line block ×3, first 2 shown]
	global_load_dwordx2 v[54:55], v[58:59], off offset:672
	v_mov_b32_e32 v58, v45
	v_mov_b32_e32 v60, v41
	s_mov_b32 s0, 0x3f3504f3
	s_waitcnt vmcnt(3)
	v_mul_f32_e32 v33, v43, v21
	v_mul_f32_e32 v51, v43, v20
	v_mov_b32_e32 v62, v23
	v_pk_mul_f32 v[64:65], v[44:45], v[22:23]
	s_waitcnt vmcnt(2)
	v_mul_f32_e32 v45, v49, v24
	s_waitcnt vmcnt(1)
	v_mul_f32_e32 v63, v40, v16
	v_mul_f32_e32 v59, v44, v24
	v_mov_b32_e32 v64, v27
	v_pk_mul_f32 v[66:67], v[48:49], v[26:27]
	v_fma_f32 v71, v38, v20, -v33
	v_fmac_f32_e32 v51, v38, v21
	v_pk_mul_f32 v[38:39], v[42:43], v[62:63]
	v_mov_b32_e32 v62, v65
	v_fma_f32 v65, -v44, v25, v45
	v_mul_f32_e32 v61, v47, v16
	v_mul_f32_e32 v67, v46, v18
	;; [unrolled: 1-line block ×3, first 2 shown]
	s_waitcnt vmcnt(0)
	v_pk_mul_f32 v[68:69], v[34:35], v[54:55]
	v_mul_f32_e32 v70, v35, v54
	v_fmac_f32_e32 v59, v49, v25
	v_pk_mul_f32 v[44:45], v[48:49], v[64:65]
	v_mov_b32_e32 v33, v66
	v_fmac_f32_e32 v63, v47, v17
	v_fma_f32 v48, -v40, v17, v61
	v_fma_f32 v47, -v32, v19, v67
	v_fmac_f32_e32 v46, v32, v18
	v_sub_f32_e32 v49, v68, v69
	v_fmac_f32_e32 v70, v34, v55
	v_pk_fma_f32 v[34:35], v[58:59], v[22:23], v[38:39] neg_lo:[0,0,1] neg_hi:[0,0,1]
	v_pk_fma_f32 v[38:39], v[42:43], v[22:23], v[62:63]
	v_pk_fma_f32 v[42:43], v[60:61], v[26:27], v[44:45] neg_lo:[0,0,1] neg_hi:[0,0,1]
	v_pk_fma_f32 v[32:33], v[40:41], v[26:27], v[32:33]
	v_sub_f32_e32 v35, v51, v63
	v_sub_f32_e32 v32, v71, v48
	;; [unrolled: 1-line block ×4, first 2 shown]
	v_fma_f32 v40, v71, 2.0, -v32
	v_fma_f32 v41, v51, 2.0, -v35
	;; [unrolled: 1-line block ×4, first 2 shown]
	v_sub_f32_e32 v48, v32, v43
	v_add_f32_e32 v49, v35, v39
	v_mov_b32_e32 v43, v33
	v_mov_b32_e32 v39, v34
	v_fma_f32 v59, v32, 2.0, -v48
	v_pk_add_f32 v[32:33], v[40:41], v[44:45] neg_lo:[0,1] neg_hi:[0,1]
	v_pk_add_f32 v[42:43], v[36:37], v[42:43] neg_lo:[0,1] neg_hi:[0,1]
	;; [unrolled: 1-line block ×3, first 2 shown]
	v_fma_f32 v58, v35, 2.0, -v49
	v_fma_f32 v36, v36, 2.0, -v42
	;; [unrolled: 1-line block ×5, first 2 shown]
	v_pk_add_f32 v[60:61], v[42:43], v[44:45] neg_lo:[0,1] neg_hi:[0,1]
	v_pk_add_f32 v[38:39], v[42:43], v[44:45]
	v_pk_add_f32 v[34:35], v[36:37], v[34:35] neg_lo:[0,1] neg_hi:[0,1]
	v_mov_b32_e32 v61, v39
	v_pk_fma_f32 v[40:41], v[40:41], 2.0, v[32:33] op_sel_hi:[1,0,1] neg_lo:[0,0,1] neg_hi:[0,0,1]
	v_pk_fma_f32 v[36:37], v[36:37], 2.0, v[34:35] op_sel_hi:[1,0,1] neg_lo:[0,0,1] neg_hi:[0,0,1]
	;; [unrolled: 1-line block ×3, first 2 shown]
	v_pk_mul_f32 v[46:47], v[48:49], s[0:1] op_sel_hi:[1,0]
	v_pk_add_f32 v[38:39], v[34:35], v[32:33] op_sel:[0,1] op_sel_hi:[1,0] neg_lo:[0,1] neg_hi:[0,1]
	v_pk_add_f32 v[32:33], v[34:35], v[32:33] op_sel:[0,1] op_sel_hi:[1,0]
	v_pk_fma_f32 v[44:45], v[48:49], s[0:1], v[60:61] op_sel_hi:[1,0,1]
	v_pk_add_f32 v[42:43], v[36:37], v[40:41] neg_lo:[0,1] neg_hi:[0,1]
	v_pk_fma_f32 v[48:49], v[58:59], s[0:1], v[62:63] op_sel:[0,0,1] op_sel_hi:[1,0,0] neg_lo:[1,0,0] neg_hi:[1,0,0]
	v_mov_b32_e32 v39, v33
	v_pk_add_f32 v[40:41], v[44:45], v[46:47] op_sel:[0,1] op_sel_hi:[1,0] neg_lo:[0,1] neg_hi:[0,1]
	v_pk_add_f32 v[64:65], v[44:45], v[46:47] op_sel:[0,1] op_sel_hi:[1,0]
	v_pk_fma_f32 v[32:33], v[36:37], 2.0, v[42:43] op_sel_hi:[1,0,1] neg_lo:[0,0,1] neg_hi:[0,0,1]
	v_pk_fma_f32 v[44:45], v[58:59], s[0:1], v[48:49] op_sel:[0,0,1] op_sel_hi:[1,0,0] neg_lo:[1,0,0] neg_hi:[1,0,0]
	v_pk_fma_f32 v[36:37], v[58:59], s[0:1], v[48:49] op_sel:[0,0,1] op_sel_hi:[1,0,0]
	v_mov_b32_e32 v41, v65
	v_mov_b32_e32 v45, v37
	v_pk_fma_f32 v[46:47], v[34:35], 2.0, v[38:39] op_sel_hi:[1,0,1] neg_lo:[0,0,1] neg_hi:[0,0,1]
	v_pk_fma_f32 v[34:35], v[62:63], 2.0, v[44:45] op_sel_hi:[1,0,1] neg_lo:[0,0,1] neg_hi:[0,0,1]
	;; [unrolled: 1-line block ×3, first 2 shown]
	s_and_saveexec_b64 s[0:1], s[2:3]
	s_cbranch_execz .LBB0_11
; %bb.10:
	v_add_u32_e32 v36, 0x400, v50
	ds_write2_b64 v36, v[46:47], v[48:49] offset0:54 offset1:145
	v_add_u32_e32 v36, 0x800, v50
	ds_write2_b64 v36, v[42:43], v[44:45] offset0:108 offset1:199
	v_add_u32_e32 v36, 0x1000, v50
	ds_write2_b64 v50, v[32:33], v[34:35] offset1:91
	ds_write2_b64 v36, v[38:39], v[40:41] offset0:34 offset1:125
.LBB0_11:
	s_or_b64 exec, exec, s[0:1]
	s_waitcnt lgkmcnt(0)
	s_barrier
	s_and_saveexec_b64 s[0:1], s[6:7]
	s_cbranch_execz .LBB0_13
; %bb.12:
	v_mov_b32_e32 v51, 0
	v_lshl_add_u64 v[36:37], s[12:13], 0, v[50:51]
	v_add_co_u32_e32 v58, vcc, 0x1000, v36
	s_mov_b64 s[14:15], 0x16c0
	s_nop 0
	v_addc_co_u32_e32 v59, vcc, 0, v37, vcc
	global_load_dwordx2 v[58:59], v[58:59], off offset:1728
	v_lshl_add_u64 v[60:61], v[36:37], 0, s[14:15]
	s_movk_i32 s14, 0x2000
	v_add_co_u32_e32 v36, vcc, s14, v36
	global_load_dwordx2 v[82:83], v[60:61], off offset:448
	global_load_dwordx2 v[84:85], v[60:61], off offset:896
	global_load_dwordx2 v[86:87], v[60:61], off offset:1344
	global_load_dwordx2 v[88:89], v[60:61], off offset:1792
	global_load_dwordx2 v[90:91], v[60:61], off offset:2240
	global_load_dwordx2 v[92:93], v[60:61], off offset:2688
	v_addc_co_u32_e32 v37, vcc, 0, v37, vcc
	global_load_dwordx2 v[94:95], v[60:61], off offset:3136
	global_load_dwordx2 v[96:97], v[60:61], off offset:3584
	;; [unrolled: 1-line block ×6, first 2 shown]
	ds_read_b64 v[36:37], v50
	v_add_u32_e32 v51, 0x800, v50
	v_add_u32_e32 v105, 0xc00, v50
	;; [unrolled: 1-line block ×3, first 2 shown]
	s_waitcnt vmcnt(12) lgkmcnt(0)
	v_mul_f32_e32 v60, v37, v59
	v_mul_f32_e32 v61, v36, v59
	v_fma_f32 v60, v36, v58, -v60
	v_fmac_f32_e32 v61, v37, v58
	ds_write_b64 v50, v[60:61]
	ds_read2_b64 v[58:61], v50 offset0:56 offset1:112
	ds_read2_b64 v[62:65], v50 offset0:168 offset1:224
	;; [unrolled: 1-line block ×6, first 2 shown]
	s_waitcnt vmcnt(11) lgkmcnt(5)
	v_mul_f32_e32 v36, v59, v83
	v_mul_f32_e32 v37, v58, v83
	s_waitcnt vmcnt(10)
	v_mul_f32_e32 v109, v61, v85
	v_mul_f32_e32 v83, v60, v85
	s_waitcnt vmcnt(9) lgkmcnt(4)
	v_mul_f32_e32 v110, v63, v87
	v_mul_f32_e32 v85, v62, v87
	s_waitcnt vmcnt(8)
	v_mul_f32_e32 v111, v65, v89
	v_mul_f32_e32 v87, v64, v89
	;; [unrolled: 6-line block ×4, first 2 shown]
	s_waitcnt vmcnt(1) lgkmcnt(1)
	v_mul_f32_e32 v116, v75, v103
	v_mul_f32_e32 v97, v74, v103
	;; [unrolled: 1-line block ×4, first 2 shown]
	s_waitcnt lgkmcnt(0)
	v_mul_f32_e32 v118, v79, v101
	v_mul_f32_e32 v99, v78, v101
	s_waitcnt vmcnt(0)
	v_mul_f32_e32 v119, v81, v107
	v_mul_f32_e32 v101, v80, v107
	v_fma_f32 v36, v58, v82, -v36
	v_fmac_f32_e32 v37, v59, v82
	v_fma_f32 v82, v60, v84, -v109
	v_fmac_f32_e32 v83, v61, v84
	;; [unrolled: 2-line block ×12, first 2 shown]
	ds_write2_b64 v50, v[36:37], v[82:83] offset0:56 offset1:112
	ds_write2_b64 v50, v[84:85], v[86:87] offset0:168 offset1:224
	;; [unrolled: 1-line block ×6, first 2 shown]
.LBB0_13:
	s_or_b64 exec, exec, s[0:1]
	s_waitcnt lgkmcnt(0)
	s_barrier
	s_and_saveexec_b64 s[0:1], s[6:7]
	s_cbranch_execz .LBB0_15
; %bb.14:
	v_add_u32_e32 v12, 0x400, v50
	ds_read2_b64 v[32:35], v50 offset1:56
	ds_read2_b64 v[46:49], v50 offset0:112 offset1:168
	ds_read2_b64 v[42:45], v12 offset0:96 offset1:152
	v_add_u32_e32 v12, 0x800, v50
	ds_read2_b64 v[38:41], v12 offset0:80 offset1:136
	ds_read2_b64 v[28:31], v12 offset0:192 offset1:248
	v_add_u32_e32 v12, 0x1000, v50
	ds_read2_b64 v[12:15], v12 offset0:48 offset1:104
	ds_read_b64 v[56:57], v50 offset:5376
.LBB0_15:
	s_or_b64 exec, exec, s[0:1]
	s_waitcnt lgkmcnt(0)
	v_pk_add_f32 v[36:37], v[34:35], v[56:57] neg_lo:[0,1] neg_hi:[0,1]
	v_pk_add_f32 v[84:85], v[34:35], v[56:57]
	v_mov_b32_e32 v59, v36
	v_mov_b32_e32 v58, v84
	v_mov_b32_e32 v84, v37
	v_pk_add_f32 v[36:37], v[46:47], v[14:15] neg_lo:[0,1] neg_hi:[0,1]
	v_pk_add_f32 v[82:83], v[46:47], v[14:15]
	v_mov_b32_e32 v61, v36
	v_mov_b32_e32 v60, v82
	v_mov_b32_e32 v82, v37
	;; [unrolled: 5-line block ×4, first 2 shown]
	v_pk_add_f32 v[36:37], v[44:45], v[28:29] neg_lo:[0,1] neg_hi:[0,1]
	v_pk_add_f32 v[76:77], v[44:45], v[28:29]
	s_mov_b32 s37, 0xbf788fa5
	s_mov_b32 s36, 0xbe750f2a
	;; [unrolled: 1-line block ×3, first 2 shown]
	v_mov_b32_e32 v66, v76
	v_mov_b32_e32 v67, v36
	;; [unrolled: 1-line block ×3, first 2 shown]
	v_pk_add_f32 v[36:37], v[38:39], v[40:41] neg_lo:[0,1] neg_hi:[0,1]
	v_pk_add_f32 v[74:75], v[38:39], v[40:41]
	v_pk_mul_f32 v[72:73], v[84:85], s[36:37]
	s_mov_b32 s0, s37
	s_mov_b32 s1, s36
	;; [unrolled: 1-line block ×3, first 2 shown]
	v_mov_b32_e32 v68, v74
	v_mov_b32_e32 v69, v36
	;; [unrolled: 1-line block ×3, first 2 shown]
	v_pk_fma_f32 v[36:37], v[58:59], s[0:1], v[72:73] neg_lo:[0,0,1] neg_hi:[0,0,1]
	v_pk_fma_f32 v[70:71], v[58:59], s[0:1], v[72:73]
	v_pk_mul_f32 v[86:87], v[82:83], s[38:39]
	s_mov_b32 s18, s39
	s_mov_b32 s19, s38
	v_mov_b32_e32 v37, v71
	v_pk_fma_f32 v[90:91], v[60:61], s[18:19], v[86:87] neg_lo:[0,0,1] neg_hi:[0,0,1]
	v_pk_fma_f32 v[88:89], v[60:61], s[18:19], v[86:87]
	s_mov_b32 s44, 0xbf29c268
	v_pk_add_f32 v[36:37], v[32:33], v[36:37]
	v_mov_b32_e32 v91, v89
	s_mov_b32 s45, 0xbf3f9e67
	v_pk_add_f32 v[36:37], v[90:91], v[36:37]
	v_pk_mul_f32 v[90:91], v[80:81], s[44:45]
	s_mov_b32 s14, s45
	s_mov_b32 s15, s44
	v_pk_fma_f32 v[94:95], v[62:63], s[14:15], v[90:91] neg_lo:[0,0,1] neg_hi:[0,0,1]
	v_pk_fma_f32 v[92:93], v[62:63], s[14:15], v[90:91]
	s_mov_b32 s46, 0x3f52af12
	v_mov_b32_e32 v95, v93
	s_mov_b32 s47, 0x3f116cb1
	v_pk_add_f32 v[36:37], v[94:95], v[36:37]
	v_pk_mul_f32 v[94:95], v[78:79], s[46:47]
	s_mov_b32 s28, s47
	s_mov_b32 s29, s46
	v_pk_fma_f32 v[98:99], v[64:65], s[28:29], v[94:95] neg_lo:[0,0,1] neg_hi:[0,0,1]
	v_pk_fma_f32 v[96:97], v[64:65], s[28:29], v[94:95]
	s_mov_b32 s42, 0xbf6f5d39
	v_mov_b32_e32 v99, v97
	s_mov_b32 s43, 0xbeb58ec6
	v_pk_add_f32 v[36:37], v[98:99], v[36:37]
	v_pk_mul_f32 v[98:99], v[76:77], s[42:43]
	s_mov_b32 s20, s43
	s_mov_b32 s21, s42
	;; [unrolled: 1-line block ×3, first 2 shown]
	v_pk_fma_f32 v[102:103], v[66:67], s[20:21], v[98:99] neg_lo:[0,0,1] neg_hi:[0,0,1]
	v_pk_fma_f32 v[100:101], v[66:67], s[20:21], v[98:99]
	s_mov_b32 s49, 0x3df6dbef
	v_mov_b32_e32 v103, v101
	v_pk_mul_f32 v[106:107], v[74:75], s[48:49]
	s_mov_b32 s24, s49
	s_mov_b32 s25, s48
	v_pk_add_f32 v[36:37], v[102:103], v[36:37]
	v_pk_fma_f32 v[102:103], v[68:69], s[24:25], v[106:107] neg_lo:[0,0,1] neg_hi:[0,0,1]
	v_pk_fma_f32 v[112:113], v[68:69], s[24:25], v[106:107]
	s_nop 0
	v_mov_b32_e32 v103, v113
	v_pk_add_f32 v[36:37], v[102:103], v[36:37]
	s_barrier
	s_and_saveexec_b64 s[22:23], s[6:7]
	s_cbranch_execz .LBB0_17
; %bb.16:
	v_pk_add_f32 v[34:35], v[34:35], v[32:33]
	s_mov_b32 s27, 0xbeedf032
	v_pk_add_f32 v[34:35], v[46:47], v[34:35]
	s_mov_b32 s30, s27
	;; [unrolled: 2-line block ×9, first 2 shown]
	v_pk_add_f32 v[12:13], v[12:13], v[28:29]
	v_lshlrev_b32_e32 v51, 3, v104
	v_pk_add_f32 v[12:13], v[14:15], v[12:13]
	v_pk_mul_f32 v[14:15], v[84:85], s[30:31]
	s_mov_b32 s31, 0xbf52af12
	v_pk_add_f32 v[102:103], v[56:57], v[12:13]
	v_pk_fma_f32 v[12:13], v[58:59], s[26:27], v[14:15]
	v_pk_fma_f32 v[28:29], v[58:59], s[26:27], v[14:15] neg_lo:[1,0,0] neg_hi:[1,0,0]
	s_mov_b32 s52, s31
	v_mov_b32_e32 v28, v12
	s_mov_b32 s30, s47
	v_pk_mul_f32 v[30:31], v[82:83], s[52:53]
	v_pk_add_f32 v[34:35], v[32:33], v[28:29]
	v_pk_fma_f32 v[28:29], v[60:61], s[30:31], v[30:31]
	v_pk_fma_f32 v[38:39], v[60:61], s[30:31], v[30:31] neg_lo:[1,0,0] neg_hi:[1,0,0]
	v_pk_mul_f32 v[110:111], v[82:83], s[42:43]
	v_mov_b32_e32 v38, v28
	v_pk_add_f32 v[40:41], v[38:39], v[34:35]
	v_pk_mul_f32 v[38:39], v[80:81], s[54:55]
	v_pk_fma_f32 v[116:117], v[60:61], s[20:21], v[110:111] neg_lo:[1,0,0] neg_hi:[1,0,0]
	v_pk_fma_f32 v[34:35], v[62:63], s[34:35], v[38:39]
	v_pk_fma_f32 v[42:43], v[62:63], s[34:35], v[38:39] neg_lo:[1,0,0] neg_hi:[1,0,0]
	s_mov_b32 s41, 0x3f29c268
	v_mov_b32_e32 v42, v34
	v_pk_add_f32 v[44:45], v[42:43], v[40:41]
	v_pk_mul_f32 v[42:43], v[78:79], s[42:43]
	s_mov_b32 s56, s41
	v_pk_fma_f32 v[40:41], v[64:65], s[20:21], v[42:43]
	v_pk_fma_f32 v[46:47], v[64:65], s[20:21], v[42:43] neg_lo:[1,0,0] neg_hi:[1,0,0]
	s_mov_b32 s57, s45
	v_mov_b32_e32 v46, v40
	v_pk_add_f32 v[48:49], v[46:47], v[44:45]
	v_pk_mul_f32 v[46:47], v[76:77], s[44:45]
	s_mov_b32 s40, s45
	v_pk_fma_f32 v[44:45], v[66:67], s[14:15], v[46:47]
	v_pk_fma_f32 v[56:57], v[66:67], s[14:15], v[46:47] neg_lo:[1,0,0] neg_hi:[1,0,0]
	v_pk_mul_f32 v[140:141], v[82:83], s[36:37]
	v_mov_b32_e32 v56, v44
	v_pk_add_f32 v[104:105], v[56:57], v[48:49]
	v_pk_mul_f32 v[56:57], v[74:75], s[36:37]
	v_pk_fma_f32 v[142:143], v[60:61], s[0:1], v[140:141]
	v_pk_fma_f32 v[48:49], v[68:69], s[0:1], v[56:57]
	v_pk_fma_f32 v[108:109], v[68:69], s[0:1], v[56:57] neg_lo:[1,0,0] neg_hi:[1,0,0]
	v_pk_fma_f32 v[144:145], v[60:61], s[0:1], v[140:141] neg_lo:[1,0,0] neg_hi:[1,0,0]
	v_mov_b32_e32 v108, v48
	v_pk_add_f32 v[104:105], v[108:109], v[104:105]
	ds_write2_b64 v51, v[102:103], v[104:105] offset1:1
	v_pk_mul_f32 v[104:105], v[84:85], s[52:53]
	s_mov_b32 s51, 0x3f6f5d39
	v_pk_fma_f32 v[102:103], v[58:59], s[30:31], v[104:105]
	v_pk_fma_f32 v[108:109], v[58:59], s[30:31], v[104:105] neg_lo:[1,0,0] neg_hi:[1,0,0]
	v_mov_b32_e32 v144, v142
	v_mov_b32_e32 v108, v102
	v_pk_add_f32 v[114:115], v[32:33], v[108:109]
	v_pk_fma_f32 v[108:109], v[60:61], s[20:21], v[110:111]
	s_mov_b32 s58, s51
	v_mov_b32_e32 v116, v108
	v_pk_add_f32 v[118:119], v[116:117], v[114:115]
	v_pk_mul_f32 v[116:117], v[80:81], s[36:37]
	s_mov_b32 s59, s43
	v_pk_fma_f32 v[114:115], v[62:63], s[0:1], v[116:117]
	v_pk_fma_f32 v[120:121], v[62:63], s[0:1], v[116:117] neg_lo:[1,0,0] neg_hi:[1,0,0]
	s_mov_b32 s50, s43
	v_mov_b32_e32 v120, v114
	v_pk_add_f32 v[122:123], v[120:121], v[118:119]
	v_pk_mul_f32 v[120:121], v[78:79], s[56:57]
	v_pk_mul_f32 v[162:163], v[82:83], s[56:57]
	v_pk_fma_f32 v[118:119], v[64:65], s[40:41], v[120:121]
	v_pk_fma_f32 v[124:125], v[64:65], s[40:41], v[120:121] neg_lo:[1,0,0] neg_hi:[1,0,0]
	v_pk_fma_f32 v[164:165], v[60:61], s[40:41], v[162:163]
	v_mov_b32_e32 v124, v118
	v_pk_add_f32 v[126:127], v[124:125], v[122:123]
	v_pk_mul_f32 v[124:125], v[76:77], s[48:49]
	v_pk_fma_f32 v[166:167], v[60:61], s[40:41], v[162:163] neg_lo:[1,0,0] neg_hi:[1,0,0]
	v_pk_fma_f32 v[122:123], v[66:67], s[24:25], v[124:125]
	v_pk_fma_f32 v[128:129], v[66:67], s[24:25], v[124:125] neg_lo:[1,0,0] neg_hi:[1,0,0]
	v_mov_b32_e32 v166, v164
	v_mov_b32_e32 v128, v122
	v_pk_add_f32 v[132:133], v[128:129], v[126:127]
	v_pk_mul_f32 v[128:129], v[74:75], s[38:39]
	v_pk_mul_f32 v[82:83], v[82:83], s[48:49]
	v_pk_fma_f32 v[126:127], v[68:69], s[18:19], v[128:129]
	v_pk_fma_f32 v[134:135], v[68:69], s[18:19], v[128:129] neg_lo:[1,0,0] neg_hi:[1,0,0]
	v_pk_fma_f32 v[186:187], v[60:61], s[24:25], v[82:83]
	v_mov_b32_e32 v134, v126
	v_pk_add_f32 v[132:133], v[134:135], v[132:133]
	v_pk_mul_f32 v[134:135], v[84:85], s[54:55]
	v_pk_fma_f32 v[188:189], v[60:61], s[24:25], v[82:83] neg_lo:[1,0,0] neg_hi:[1,0,0]
	v_pk_fma_f32 v[136:137], v[58:59], s[34:35], v[134:135]
	v_pk_fma_f32 v[138:139], v[58:59], s[34:35], v[134:135] neg_lo:[1,0,0] neg_hi:[1,0,0]
	v_mov_b32_e32 v188, v186
	v_mov_b32_e32 v138, v136
	v_pk_add_f32 v[138:139], v[32:33], v[138:139]
	v_pk_fma_f32 v[14:15], v[58:59], s[26:27], v[14:15] neg_lo:[0,0,1] neg_hi:[0,0,1]
	v_pk_add_f32 v[138:139], v[144:145], v[138:139]
	v_pk_mul_f32 v[144:145], v[80:81], s[58:59]
	v_mov_b32_e32 v15, v13
	v_pk_fma_f32 v[146:147], v[62:63], s[50:51], v[144:145]
	v_pk_fma_f32 v[148:149], v[62:63], s[50:51], v[144:145] neg_lo:[1,0,0] neg_hi:[1,0,0]
	v_pk_add_f32 v[12:13], v[32:33], v[14:15]
	v_mov_b32_e32 v148, v146
	v_pk_add_f32 v[138:139], v[148:149], v[138:139]
	v_pk_mul_f32 v[148:149], v[78:79], s[38:39]
	v_pk_fma_f32 v[14:15], v[60:61], s[30:31], v[30:31] neg_lo:[0,0,1] neg_hi:[0,0,1]
	v_pk_fma_f32 v[150:151], v[64:65], s[18:19], v[148:149]
	v_pk_fma_f32 v[152:153], v[64:65], s[18:19], v[148:149] neg_lo:[1,0,0] neg_hi:[1,0,0]
	v_mov_b32_e32 v15, v29
	v_mov_b32_e32 v152, v150
	v_pk_add_f32 v[138:139], v[152:153], v[138:139]
	v_pk_mul_f32 v[152:153], v[76:77], s[52:53]
	v_pk_add_f32 v[12:13], v[14:15], v[12:13]
	v_pk_fma_f32 v[154:155], v[66:67], s[30:31], v[152:153]
	v_pk_fma_f32 v[156:157], v[66:67], s[30:31], v[152:153] neg_lo:[1,0,0] neg_hi:[1,0,0]
	v_pk_fma_f32 v[14:15], v[62:63], s[34:35], v[38:39] neg_lo:[0,0,1] neg_hi:[0,0,1]
	v_mov_b32_e32 v156, v154
	v_pk_add_f32 v[138:139], v[156:157], v[138:139]
	v_pk_mul_f32 v[156:157], v[74:75], s[44:45]
	v_mov_b32_e32 v15, v35
	v_pk_fma_f32 v[158:159], v[68:69], s[14:15], v[156:157]
	v_pk_fma_f32 v[160:161], v[68:69], s[14:15], v[156:157] neg_lo:[1,0,0] neg_hi:[1,0,0]
	v_pk_add_f32 v[12:13], v[14:15], v[12:13]
	v_mov_b32_e32 v160, v158
	v_pk_add_f32 v[138:139], v[160:161], v[138:139]
	ds_write2_b64 v51, v[132:133], v[138:139] offset0:2 offset1:3
	v_pk_mul_f32 v[132:133], v[84:85], s[42:43]
	v_pk_mul_f32 v[84:85], v[84:85], s[44:45]
	v_pk_fma_f32 v[138:139], v[58:59], s[20:21], v[132:133]
	v_pk_fma_f32 v[160:161], v[58:59], s[20:21], v[132:133] neg_lo:[1,0,0] neg_hi:[1,0,0]
	v_pk_fma_f32 v[184:185], v[58:59], s[14:15], v[84:85] neg_lo:[1,0,0] neg_hi:[1,0,0]
	v_mov_b32_e32 v160, v138
	v_pk_add_f32 v[160:161], v[32:33], v[160:161]
	v_pk_fma_f32 v[14:15], v[64:65], s[20:21], v[42:43] neg_lo:[0,0,1] neg_hi:[0,0,1]
	v_pk_add_f32 v[160:161], v[166:167], v[160:161]
	v_pk_mul_f32 v[166:167], v[80:81], s[38:39]
	v_pk_mul_f32 v[80:81], v[80:81], s[52:53]
	v_pk_fma_f32 v[168:169], v[62:63], s[18:19], v[166:167]
	v_pk_fma_f32 v[170:171], v[62:63], s[18:19], v[166:167] neg_lo:[1,0,0] neg_hi:[1,0,0]
	v_pk_fma_f32 v[190:191], v[62:63], s[30:31], v[80:81] neg_lo:[1,0,0] neg_hi:[1,0,0]
	v_mov_b32_e32 v170, v168
	v_pk_add_f32 v[160:161], v[170:171], v[160:161]
	v_pk_mul_f32 v[170:171], v[78:79], s[54:55]
	s_mov_b32 s55, 0x3e750f2a
	v_pk_fma_f32 v[172:173], v[64:65], s[34:35], v[170:171]
	v_pk_fma_f32 v[174:175], v[64:65], s[34:35], v[170:171] neg_lo:[1,0,0] neg_hi:[1,0,0]
	s_mov_b32 s36, s55
	v_mov_b32_e32 v174, v172
	v_pk_add_f32 v[160:161], v[174:175], v[160:161]
	s_mov_b32 s54, s37
	v_pk_mul_f32 v[174:175], v[76:77], s[36:37]
	v_pk_mul_f32 v[78:79], v[78:79], s[36:37]
	v_pk_fma_f32 v[176:177], v[66:67], s[54:55], v[174:175]
	v_pk_fma_f32 v[178:179], v[66:67], s[54:55], v[174:175] neg_lo:[1,0,0] neg_hi:[1,0,0]
	v_pk_fma_f32 v[192:193], v[64:65], s[54:55], v[78:79] neg_lo:[1,0,0] neg_hi:[1,0,0]
	v_mov_b32_e32 v178, v176
	v_pk_add_f32 v[160:161], v[178:179], v[160:161]
	v_pk_mul_f32 v[178:179], v[74:75], s[46:47]
	v_pk_mul_f32 v[76:77], v[76:77], s[38:39]
	v_pk_fma_f32 v[180:181], v[68:69], s[28:29], v[178:179]
	v_pk_fma_f32 v[182:183], v[68:69], s[28:29], v[178:179] neg_lo:[1,0,0] neg_hi:[1,0,0]
	v_pk_fma_f32 v[194:195], v[66:67], s[18:19], v[76:77] neg_lo:[1,0,0] neg_hi:[1,0,0]
	v_mov_b32_e32 v182, v180
	v_pk_add_f32 v[160:161], v[182:183], v[160:161]
	v_pk_fma_f32 v[182:183], v[58:59], s[14:15], v[84:85]
	v_pk_mul_f32 v[74:75], v[74:75], s[42:43]
	v_mov_b32_e32 v184, v182
	v_pk_add_f32 v[184:185], v[32:33], v[184:185]
	v_pk_fma_f32 v[196:197], v[68:69], s[20:21], v[74:75] neg_lo:[1,0,0] neg_hi:[1,0,0]
	v_pk_add_f32 v[184:185], v[188:189], v[184:185]
	v_pk_fma_f32 v[188:189], v[62:63], s[30:31], v[80:81]
	v_mov_b32_e32 v15, v41
	v_mov_b32_e32 v190, v188
	v_pk_add_f32 v[184:185], v[190:191], v[184:185]
	v_pk_fma_f32 v[190:191], v[64:65], s[54:55], v[78:79]
	v_pk_add_f32 v[12:13], v[14:15], v[12:13]
	v_mov_b32_e32 v192, v190
	v_pk_add_f32 v[184:185], v[192:193], v[184:185]
	v_pk_fma_f32 v[192:193], v[66:67], s[18:19], v[76:77]
	v_pk_fma_f32 v[14:15], v[66:67], s[14:15], v[46:47] neg_lo:[0,0,1] neg_hi:[0,0,1]
	v_mov_b32_e32 v194, v192
	v_pk_add_f32 v[184:185], v[194:195], v[184:185]
	v_pk_fma_f32 v[194:195], v[68:69], s[20:21], v[74:75]
	v_mov_b32_e32 v15, v45
	v_mov_b32_e32 v196, v194
	v_pk_add_f32 v[184:185], v[196:197], v[184:185]
	ds_write2_b64 v51, v[160:161], v[184:185] offset0:4 offset1:5
	v_pk_mul_f32 v[160:161], v[58:59], s[0:1]
	v_pk_add_f32 v[12:13], v[14:15], v[12:13]
	v_pk_add_f32 v[72:73], v[72:73], v[160:161] neg_lo:[0,1] neg_hi:[0,1]
	v_pk_fma_f32 v[14:15], v[68:69], s[0:1], v[56:57] neg_lo:[0,0,1] neg_hi:[0,0,1]
	v_mov_b32_e32 v71, v73
	v_pk_mul_f32 v[72:73], v[60:61], s[18:19]
	v_pk_add_f32 v[70:71], v[32:33], v[70:71]
	v_pk_add_f32 v[72:73], v[86:87], v[72:73] neg_lo:[0,1] neg_hi:[0,1]
	v_mov_b32_e32 v15, v49
	v_mov_b32_e32 v89, v73
	v_pk_mul_f32 v[72:73], v[62:63], s[14:15]
	v_pk_add_f32 v[70:71], v[88:89], v[70:71]
	v_pk_add_f32 v[72:73], v[90:91], v[72:73] neg_lo:[0,1] neg_hi:[0,1]
	v_pk_add_f32 v[12:13], v[14:15], v[12:13]
	v_mov_b32_e32 v93, v73
	v_pk_mul_f32 v[72:73], v[64:65], s[28:29]
	v_pk_add_f32 v[70:71], v[92:93], v[70:71]
	v_pk_add_f32 v[72:73], v[94:95], v[72:73] neg_lo:[0,1] neg_hi:[0,1]
	ds_write_b64 v51, v[12:13] offset:96
	v_mov_b32_e32 v97, v73
	v_pk_mul_f32 v[72:73], v[66:67], s[20:21]
	v_pk_add_f32 v[70:71], v[96:97], v[70:71]
	v_pk_add_f32 v[72:73], v[98:99], v[72:73] neg_lo:[0,1] neg_hi:[0,1]
	s_nop 0
	v_mov_b32_e32 v101, v73
	v_pk_mul_f32 v[72:73], v[68:69], s[24:25]
	v_pk_add_f32 v[70:71], v[100:101], v[70:71]
	v_pk_add_f32 v[72:73], v[106:107], v[72:73] neg_lo:[0,1] neg_hi:[0,1]
	s_nop 0
	v_mov_b32_e32 v113, v73
	v_pk_add_f32 v[70:71], v[112:113], v[70:71]
	ds_write2_b64 v51, v[70:71], v[36:37] offset0:6 offset1:7
	v_pk_fma_f32 v[70:71], v[58:59], s[14:15], v[84:85] neg_lo:[0,0,1] neg_hi:[0,0,1]
	v_pk_fma_f32 v[72:73], v[60:61], s[24:25], v[82:83] neg_lo:[0,0,1] neg_hi:[0,0,1]
	v_mov_b32_e32 v71, v183
	v_mov_b32_e32 v73, v187
	v_pk_add_f32 v[70:71], v[32:33], v[70:71]
	s_nop 0
	v_pk_add_f32 v[70:71], v[72:73], v[70:71]
	v_pk_fma_f32 v[72:73], v[62:63], s[30:31], v[80:81] neg_lo:[0,0,1] neg_hi:[0,0,1]
	s_nop 0
	v_mov_b32_e32 v73, v189
	v_pk_add_f32 v[70:71], v[72:73], v[70:71]
	v_pk_fma_f32 v[72:73], v[64:65], s[54:55], v[78:79] neg_lo:[0,0,1] neg_hi:[0,0,1]
	s_nop 0
	v_mov_b32_e32 v73, v191
	;; [unrolled: 4-line block ×3, first 2 shown]
	v_pk_add_f32 v[70:71], v[72:73], v[70:71]
	v_pk_fma_f32 v[72:73], v[68:69], s[20:21], v[74:75] neg_lo:[0,0,1] neg_hi:[0,0,1]
	v_pk_fma_f32 v[74:75], v[60:61], s[40:41], v[162:163] neg_lo:[0,0,1] neg_hi:[0,0,1]
	v_mov_b32_e32 v73, v195
	v_pk_add_f32 v[70:71], v[72:73], v[70:71]
	v_pk_fma_f32 v[72:73], v[58:59], s[20:21], v[132:133] neg_lo:[0,0,1] neg_hi:[0,0,1]
	v_mov_b32_e32 v75, v165
	v_mov_b32_e32 v73, v139
	v_pk_add_f32 v[72:73], v[32:33], v[72:73]
	s_nop 0
	v_pk_add_f32 v[72:73], v[74:75], v[72:73]
	v_pk_fma_f32 v[74:75], v[62:63], s[18:19], v[166:167] neg_lo:[0,0,1] neg_hi:[0,0,1]
	s_nop 0
	v_mov_b32_e32 v75, v169
	v_pk_add_f32 v[72:73], v[74:75], v[72:73]
	v_pk_fma_f32 v[74:75], v[64:65], s[34:35], v[170:171] neg_lo:[0,0,1] neg_hi:[0,0,1]
	s_nop 0
	v_mov_b32_e32 v75, v173
	;; [unrolled: 4-line block ×4, first 2 shown]
	v_pk_add_f32 v[72:73], v[74:75], v[72:73]
	ds_write2_b64 v51, v[70:71], v[72:73] offset0:8 offset1:9
	v_pk_fma_f32 v[70:71], v[58:59], s[34:35], v[134:135] neg_lo:[0,0,1] neg_hi:[0,0,1]
	v_pk_fma_f32 v[72:73], v[60:61], s[0:1], v[140:141] neg_lo:[0,0,1] neg_hi:[0,0,1]
	v_mov_b32_e32 v71, v137
	v_pk_add_f32 v[70:71], v[32:33], v[70:71]
	v_mov_b32_e32 v73, v143
	v_pk_add_f32 v[70:71], v[72:73], v[70:71]
	v_pk_fma_f32 v[72:73], v[62:63], s[50:51], v[144:145] neg_lo:[0,0,1] neg_hi:[0,0,1]
	v_pk_fma_f32 v[74:75], v[60:61], s[20:21], v[110:111] neg_lo:[0,0,1] neg_hi:[0,0,1]
	v_mov_b32_e32 v73, v147
	v_pk_add_f32 v[70:71], v[72:73], v[70:71]
	v_pk_fma_f32 v[72:73], v[64:65], s[18:19], v[148:149] neg_lo:[0,0,1] neg_hi:[0,0,1]
	v_mov_b32_e32 v75, v109
	v_mov_b32_e32 v73, v151
	v_pk_add_f32 v[70:71], v[72:73], v[70:71]
	v_pk_fma_f32 v[72:73], v[66:67], s[30:31], v[152:153] neg_lo:[0,0,1] neg_hi:[0,0,1]
	s_nop 0
	v_mov_b32_e32 v73, v155
	v_pk_add_f32 v[70:71], v[72:73], v[70:71]
	v_pk_fma_f32 v[72:73], v[68:69], s[14:15], v[156:157] neg_lo:[0,0,1] neg_hi:[0,0,1]
	s_nop 0
	;; [unrolled: 4-line block ×3, first 2 shown]
	v_mov_b32_e32 v73, v103
	v_pk_add_f32 v[72:73], v[32:33], v[72:73]
	s_nop 0
	v_pk_add_f32 v[72:73], v[74:75], v[72:73]
	v_pk_fma_f32 v[74:75], v[62:63], s[0:1], v[116:117] neg_lo:[0,0,1] neg_hi:[0,0,1]
	s_nop 0
	v_mov_b32_e32 v75, v115
	v_pk_add_f32 v[72:73], v[74:75], v[72:73]
	v_pk_fma_f32 v[74:75], v[64:65], s[40:41], v[120:121] neg_lo:[0,0,1] neg_hi:[0,0,1]
	s_nop 0
	v_mov_b32_e32 v75, v119
	;; [unrolled: 4-line block ×4, first 2 shown]
	v_pk_add_f32 v[72:73], v[74:75], v[72:73]
	ds_write2_b64 v51, v[70:71], v[72:73] offset0:10 offset1:11
.LBB0_17:
	s_or_b64 exec, exec, s[22:23]
	v_add_u32_e32 v12, 0x400, v50
	s_waitcnt lgkmcnt(0)
	s_barrier
	ds_read2_b64 v[12:15], v12 offset0:80 offset1:184
	ds_read2_b64 v[28:31], v50 offset1:104
	v_add_u32_e32 v32, 0xc00, v50
	ds_read2_b64 v[32:35], v32 offset0:32 offset1:136
	ds_read_b64 v[38:39], v50 offset:4992
	v_mov_b32_e32 v42, v9
	s_waitcnt lgkmcnt(3)
	v_pk_mul_f32 v[44:45], v[8:9], v[14:15] op_sel:[0,1] op_sel_hi:[1,0]
	v_pk_mul_f32 v[40:41], v[8:9], v[14:15]
	v_mov_b32_e32 v44, v45
	s_waitcnt lgkmcnt(1)
	v_pk_mul_f32 v[46:47], v[10:11], v[32:33] op_sel:[0,1] op_sel_hi:[1,0]
	v_pk_fma_f32 v[8:9], v[8:9], v[14:15], v[44:45] op_sel:[0,1,0] op_sel_hi:[1,0,1] neg_lo:[0,0,1] neg_hi:[0,0,1]
	v_mov_b32_e32 v44, v11
	v_mov_b32_e32 v46, v47
	v_pk_mul_f32 v[42:43], v[42:43], v[14:15] op_sel:[0,1] op_sel_hi:[1,0]
	v_pk_mul_f32 v[14:15], v[10:11], v[32:33]
	v_pk_mul_f32 v[44:45], v[44:45], v[32:33] op_sel:[0,1] op_sel_hi:[1,0]
	v_pk_fma_f32 v[10:11], v[10:11], v[32:33], v[46:47] op_sel:[0,1,0] op_sel_hi:[1,0,1] neg_lo:[0,0,1] neg_hi:[0,0,1]
	v_mov_b32_e32 v32, v31
	v_pk_mul_f32 v[46:47], v[4:5], v[30:31] op_sel_hi:[1,0]
	s_mov_b32 s0, 0x3d64c772
	v_pk_fma_f32 v[32:33], v[4:5], v[32:33], v[46:47] op_sel:[0,0,1] op_sel_hi:[1,1,0] neg_lo:[0,0,1] neg_hi:[0,0,1]
	v_pk_fma_f32 v[4:5], v[4:5], v[30:31], v[46:47] op_sel:[0,1,1] op_sel_hi:[1,1,0]
	v_pk_mul_f32 v[30:31], v[6:7], v[12:13] op_sel_hi:[1,0]
	v_mov_b32_e32 v4, v13
	v_mov_b32_e32 v33, v5
	v_pk_fma_f32 v[4:5], v[6:7], v[4:5], v[30:31] op_sel:[0,0,1] op_sel_hi:[1,1,0] neg_lo:[0,0,1] neg_hi:[0,0,1]
	v_pk_fma_f32 v[6:7], v[6:7], v[12:13], v[30:31] op_sel:[0,1,1] op_sel_hi:[1,1,0]
	v_pk_mul_f32 v[12:13], v[0:1], v[34:35] op_sel_hi:[1,0]
	v_mov_b32_e32 v6, v35
	v_mov_b32_e32 v5, v7
	v_pk_fma_f32 v[6:7], v[0:1], v[6:7], v[12:13] op_sel:[0,0,1] op_sel_hi:[1,1,0] neg_lo:[0,0,1] neg_hi:[0,0,1]
	v_pk_fma_f32 v[0:1], v[0:1], v[34:35], v[12:13] op_sel:[0,1,1] op_sel_hi:[1,1,0]
	s_waitcnt lgkmcnt(0)
	v_pk_mul_f32 v[12:13], v[2:3], v[38:39] op_sel_hi:[1,0]
	v_mov_b32_e32 v0, v39
	v_mov_b32_e32 v7, v1
	v_pk_fma_f32 v[0:1], v[2:3], v[0:1], v[12:13] op_sel:[0,0,1] op_sel_hi:[1,1,0] neg_lo:[0,0,1] neg_hi:[0,0,1]
	v_pk_fma_f32 v[2:3], v[2:3], v[38:39], v[12:13] op_sel:[0,1,1] op_sel_hi:[1,1,0]
	v_mov_b32_e32 v15, v32
	v_mov_b32_e32 v1, v3
	;; [unrolled: 1-line block ×5, first 2 shown]
	v_pk_add_f32 v[2:3], v[32:33], v[0:1]
	v_pk_add_f32 v[30:31], v[32:33], v[0:1] neg_lo:[0,1] neg_hi:[0,1]
	v_pk_add_f32 v[14:15], v[14:15], v[44:45]
	v_pk_add_f32 v[0:1], v[40:41], v[42:43]
	;; [unrolled: 1-line block ×3, first 2 shown]
	v_mov_b32_e32 v11, v14
	v_mov_b32_e32 v9, v0
	v_pk_add_f32 v[34:35], v[4:5], v[6:7] neg_lo:[0,1] neg_hi:[0,1]
	v_pk_add_f32 v[4:5], v[10:11], v[8:9] neg_lo:[0,1] neg_hi:[0,1]
	v_mov_b32_e32 v32, v13
	v_mov_b32_e32 v33, v8
	;; [unrolled: 1-line block ×4, first 2 shown]
	v_pk_add_f32 v[8:9], v[32:33], v[8:9]
	v_pk_add_f32 v[10:11], v[0:1], v[14:15]
	v_mov_b32_e32 v0, v13
	v_mov_b32_e32 v14, v3
	v_pk_add_f32 v[12:13], v[0:1], v[14:15] neg_lo:[0,1] neg_hi:[0,1]
	v_sub_f32_e32 v14, v3, v10
	v_mov_b32_e32 v2, v10
	v_mov_b32_e32 v3, v9
	v_pk_add_f32 v[2:3], v[2:3], v[0:1] neg_lo:[0,1] neg_hi:[0,1]
	v_pk_add_f32 v[0:1], v[4:5], v[34:35]
	v_sub_f32_e32 v46, v30, v4
	v_pk_add_f32 v[6:7], v[34:35], v[30:31] neg_lo:[0,1] neg_hi:[0,1]
	v_pk_add_f32 v[32:33], v[4:5], v[34:35] neg_lo:[0,1] neg_hi:[0,1]
	v_pk_add_f32 v[10:11], v[8:9], v[10:11]
	v_pk_add_f32 v[34:35], v[0:1], v[30:31]
	v_pk_mul_f32 v[2:3], v[2:3], s[0:1] op_sel_hi:[1,0]
	s_mov_b32 s0, 0x3f3bfb3b
	s_mov_b32 s20, 0x3f4a47b2
	v_mov_b32_e32 v30, v15
	v_mov_b32_e32 v4, v9
	v_pk_add_f32 v[0:1], v[28:29], v[10:11]
	v_pk_mul_f32 v[28:29], v[12:13], s[0:1] op_sel_hi:[1,0]
	s_mov_b32 s18, 0x3f08b237
	s_mov_b32 s21, 0xbeae86e6
	v_pk_fma_f32 v[44:45], v[12:13], s[0:1], v[2:3] op_sel_hi:[1,0,1] neg_lo:[0,0,1] neg_hi:[0,0,1]
	s_mov_b32 s0, 0xbf4a47b2
	v_pk_add_f32 v[4:5], v[30:31], v[4:5] neg_lo:[0,1] neg_hi:[0,1]
	v_pk_mul_f32 v[32:33], v[32:33], s[18:19] op_sel_hi:[1,0]
	v_fmamk_f32 v43, v14, 0x3f4a47b2, v2
	v_fma_f32 v42, v14, s0, -v28
	v_pk_mul_f32 v[14:15], v[4:5], s[20:21]
	v_mul_f32_e32 v11, 0x3f955555, v11
	s_mov_b32 s18, 0xbf5ff5aa
	v_fmamk_f32 v8, v10, 0xbf955555, v0
	v_mov_b32_e32 v2, v33
	v_mov_b32_e32 v10, v15
	s_mov_b32 s14, 0xbee1c552
	v_pk_mul_f32 v[40:41], v[6:7], s[18:19] op_sel_hi:[1,0]
	s_mov_b32 s0, 0x3eae86e6
	v_pk_add_f32 v[30:31], v[2:3], v[10:11]
	v_mov_b32_e32 v2, v3
	v_pk_mul_f32 v[38:39], v[34:35], s[14:15] op_sel_hi:[1,0]
	v_fmamk_f32 v13, v46, 0xbeae86e6, v32
	v_pk_fma_f32 v[6:7], v[6:7], s[18:19], v[32:33] op_sel_hi:[1,0,1] neg_lo:[0,0,1] neg_hi:[0,0,1]
	v_fma_f32 v12, v46, s0, -v40
	v_pk_add_f32 v[10:11], v[0:1], v[10:11] neg_lo:[0,1] neg_hi:[0,1]
	v_pk_fma_f32 v[2:3], v[4:5], s[20:21], v[2:3]
	v_pk_fma_f32 v[4:5], v[4:5], s[20:21], v[40:41] neg_lo:[1,0,1] neg_hi:[1,0,1]
	v_pk_fma_f32 v[34:35], v[34:35], s[14:15], v[6:7] op_sel_hi:[1,0,1]
	v_pk_add_f32 v[6:7], v[42:43], v[8:9] op_sel_hi:[1,0]
	v_pk_add_f32 v[42:43], v[38:39], v[12:13] op_sel_hi:[0,1]
	v_mov_b32_e32 v31, v11
	v_sub_f32_e64 v15, -v14, v29
	v_mov_b32_e32 v3, v5
	v_mov_b32_e32 v14, v39
	;; [unrolled: 1-line block ×3, first 2 shown]
	v_pk_add_f32 v[4:5], v[14:15], v[30:31]
	v_pk_add_f32 v[28:29], v[2:3], v[38:39]
	v_mov_b32_e32 v9, v11
	v_mov_b32_e32 v2, v5
	;; [unrolled: 1-line block ×5, first 2 shown]
	v_pk_add_f32 v[12:13], v[42:43], v[6:7]
	v_pk_add_f32 v[8:9], v[44:45], v[8:9]
	v_pk_add_f32 v[2:3], v[2:3], v[10:11] neg_lo:[0,1] neg_hi:[0,1]
	v_pk_add_f32 v[14:15], v[34:35], v[8:9]
	v_pk_add_f32 v[10:11], v[8:9], v[34:35] neg_lo:[0,1] neg_hi:[0,1]
	v_pk_add_f32 v[28:29], v[28:29], v[4:5]
	v_mov_b32_e32 v4, v13
	v_mov_b32_e32 v5, v3
	v_pk_add_f32 v[6:7], v[6:7], v[42:43] neg_lo:[0,1] neg_hi:[0,1]
	s_barrier
	ds_write2_b64 v130, v[0:1], v[4:5] offset1:13
	v_mov_b32_e32 v4, v12
	v_mov_b32_e32 v5, v2
	;; [unrolled: 1-line block ×4, first 2 shown]
	ds_write2_b64 v130, v[4:5], v[8:9] offset0:26 offset1:39
	v_mov_b32_e32 v4, v14
	v_mov_b32_e32 v5, v11
	;; [unrolled: 1-line block ×4, first 2 shown]
	ds_write2_b64 v130, v[4:5], v[8:9] offset0:52 offset1:65
	v_mov_b32_e32 v4, v7
	v_mov_b32_e32 v5, v28
	ds_write_b64 v130, v[4:5] offset:624
	s_waitcnt lgkmcnt(0)
	s_barrier
	s_and_saveexec_b64 s[0:1], s[4:5]
	s_xor_b64 s[0:1], exec, s[0:1]
	s_andn2_saveexec_b64 s[0:1], s[0:1]
	s_cbranch_execz .LBB0_19
; %bb.18:
	v_add_u32_e32 v0, 0x800, v50
	v_add_u32_e32 v1, 0x1000, v50
	ds_read2_b64 v[34:37], v1 offset0:34 offset1:125
	ds_read2_b64 v[4:7], v0 offset0:108 offset1:199
	v_add_u32_e32 v0, 0x400, v50
	ds_read2_b64 v[8:11], v0 offset0:54 offset1:145
	ds_read2_b64 v[0:3], v50 offset1:91
	s_waitcnt lgkmcnt(3)
	v_mov_b32_e32 v28, v35
	s_waitcnt lgkmcnt(2)
	v_mov_b32_e32 v29, v7
	v_mov_b32_e32 v14, v4
	s_waitcnt lgkmcnt(1)
	v_mov_b32_e32 v15, v11
	;; [unrolled: 3-line block ×3, first 2 shown]
	v_mov_b32_e32 v7, v34
	v_mov_b32_e32 v11, v5
	;; [unrolled: 1-line block ×3, first 2 shown]
.LBB0_19:
	s_or_b64 exec, exec, s[0:1]
	s_and_saveexec_b64 s[0:1], s[2:3]
	s_cbranch_execz .LBB0_21
; %bb.20:
	v_pk_mul_f32 v[8:9], v[22:23], v[2:3] op_sel_hi:[1,0]
	v_pk_mul_f32 v[30:31], v[18:19], v[28:29] op_sel_hi:[1,0]
	v_pk_fma_f32 v[38:39], v[22:23], v[12:13], v[8:9] op_sel:[0,0,1] op_sel_hi:[1,1,0]
	v_pk_fma_f32 v[8:9], v[22:23], v[12:13], v[8:9] op_sel:[0,0,1] op_sel_hi:[1,0,0] neg_lo:[1,0,0] neg_hi:[1,0,0]
	v_pk_mul_f32 v[4:5], v[26:27], v[10:11] op_sel:[0,1]
	v_mov_b32_e32 v39, v9
	v_pk_fma_f32 v[8:9], v[18:19], v[6:7], v[30:31] op_sel:[0,1,1] op_sel_hi:[1,1,0]
	v_pk_fma_f32 v[18:19], v[18:19], v[6:7], v[30:31] op_sel:[0,1,1] op_sel_hi:[1,1,0] neg_lo:[1,0,0] neg_hi:[1,0,0]
	v_pk_mul_f32 v[32:33], v[24:25], v[14:15] op_sel:[0,1]
	v_mov_b32_e32 v9, v19
	;; [unrolled: 4-line block ×3, first 2 shown]
	v_pk_fma_f32 v[14:15], v[24:25], v[10:11], v[32:33] op_sel:[0,0,1] op_sel_hi:[1,1,0]
	v_pk_fma_f32 v[10:11], v[24:25], v[10:11], v[32:33] op_sel:[0,0,1] op_sel_hi:[1,0,0] neg_lo:[1,0,0] neg_hi:[1,0,0]
	v_pk_mul_f32 v[2:3], v[20:21], v[2:3] op_sel:[0,1]
	v_pk_add_f32 v[4:5], v[0:1], v[18:19] neg_lo:[0,1] neg_hi:[0,1]
	v_mov_b32_e32 v15, v11
	v_pk_fma_f32 v[10:11], v[54:55], v[36:37], v[34:35] op_sel:[0,0,1] op_sel_hi:[1,1,0]
	v_pk_fma_f32 v[18:19], v[54:55], v[36:37], v[34:35] op_sel:[0,0,1] op_sel_hi:[1,0,0] neg_lo:[1,0,0] neg_hi:[1,0,0]
	v_pk_mul_f32 v[28:29], v[16:17], v[28:29] op_sel:[0,1]
	v_mov_b32_e32 v11, v19
	v_pk_fma_f32 v[18:19], v[20:21], v[12:13], v[2:3] op_sel:[0,1,1] op_sel_hi:[1,1,0]
	v_pk_fma_f32 v[2:3], v[20:21], v[12:13], v[2:3] op_sel:[0,1,1] op_sel_hi:[1,1,0] neg_lo:[1,0,0] neg_hi:[1,0,0]
	v_pk_add_f32 v[8:9], v[38:39], v[8:9] neg_lo:[0,1] neg_hi:[0,1]
	v_mov_b32_e32 v19, v3
	v_pk_fma_f32 v[2:3], v[16:17], v[6:7], v[28:29] op_sel:[0,0,1] op_sel_hi:[1,1,0]
	v_pk_fma_f32 v[6:7], v[16:17], v[6:7], v[28:29] op_sel:[0,0,1] op_sel_hi:[1,0,0] neg_lo:[1,0,0] neg_hi:[1,0,0]
	v_pk_add_f32 v[10:11], v[14:15], v[10:11] neg_lo:[0,1] neg_hi:[0,1]
	v_mov_b32_e32 v3, v7
	v_pk_add_f32 v[2:3], v[18:19], v[2:3] neg_lo:[0,1] neg_hi:[0,1]
	v_pk_fma_f32 v[6:7], v[38:39], 2.0, v[8:9] op_sel_hi:[1,0,1] neg_lo:[0,0,1] neg_hi:[0,0,1]
	v_pk_add_f32 v[16:17], v[4:5], v[8:9] op_sel:[0,1] op_sel_hi:[1,0]
	v_pk_add_f32 v[8:9], v[4:5], v[8:9] op_sel:[0,1] op_sel_hi:[1,0] neg_lo:[0,1] neg_hi:[0,1]
	v_pk_fma_f32 v[14:15], v[14:15], 2.0, v[10:11] op_sel_hi:[1,0,1] neg_lo:[0,0,1] neg_hi:[0,0,1]
	v_mov_b32_e32 v17, v9
	v_pk_add_f32 v[8:9], v[2:3], v[10:11] op_sel:[0,1] op_sel_hi:[1,0]
	v_pk_add_f32 v[10:11], v[2:3], v[10:11] op_sel:[0,1] op_sel_hi:[1,0] neg_lo:[0,1] neg_hi:[0,1]
	v_pk_fma_f32 v[0:1], v[0:1], 2.0, v[4:5] op_sel_hi:[1,0,1] neg_lo:[0,0,1] neg_hi:[0,0,1]
	v_mov_b32_e32 v9, v11
	v_pk_fma_f32 v[12:13], v[18:19], 2.0, v[2:3] op_sel_hi:[1,0,1] neg_lo:[0,0,1] neg_hi:[0,0,1]
	v_pk_fma_f32 v[2:3], v[2:3], 2.0, v[8:9] op_sel_hi:[1,0,1] neg_lo:[0,0,1] neg_hi:[0,0,1]
	s_mov_b32 s2, 0x3f3504f3
	v_pk_fma_f32 v[4:5], v[4:5], 2.0, v[16:17] op_sel_hi:[1,0,1] neg_lo:[0,0,1] neg_hi:[0,0,1]
	v_pk_add_f32 v[6:7], v[0:1], v[6:7] neg_lo:[0,1] neg_hi:[0,1]
	v_pk_add_f32 v[14:15], v[12:13], v[14:15] neg_lo:[0,1] neg_hi:[0,1]
	v_pk_mul_f32 v[10:11], v[2:3], s[2:3] op_sel_hi:[1,0]
	v_pk_fma_f32 v[2:3], v[2:3], s[2:3], v[4:5] op_sel_hi:[1,0,1] neg_lo:[1,0,0] neg_hi:[1,0,0]
	v_pk_fma_f32 v[0:1], v[0:1], 2.0, v[6:7] op_sel_hi:[1,0,1] neg_lo:[0,0,1] neg_hi:[0,0,1]
	v_pk_fma_f32 v[12:13], v[12:13], 2.0, v[14:15] op_sel_hi:[1,0,1] neg_lo:[0,0,1] neg_hi:[0,0,1]
	v_pk_add_f32 v[18:19], v[2:3], v[10:11] op_sel:[0,1] op_sel_hi:[1,0]
	v_pk_add_f32 v[2:3], v[2:3], v[10:11] op_sel:[0,1] op_sel_hi:[1,0] neg_lo:[0,1] neg_hi:[0,1]
	v_pk_add_f32 v[12:13], v[0:1], v[12:13] neg_lo:[0,1] neg_hi:[0,1]
	v_mov_b32_e32 v19, v3
	v_pk_fma_f32 v[0:1], v[0:1], 2.0, v[12:13] op_sel_hi:[1,0,1] neg_lo:[0,0,1] neg_hi:[0,0,1]
	v_pk_fma_f32 v[2:3], v[4:5], 2.0, v[18:19] op_sel_hi:[1,0,1] neg_lo:[0,0,1] neg_hi:[0,0,1]
	ds_write2_b64 v50, v[0:1], v[2:3] offset1:91
	v_pk_add_f32 v[0:1], v[6:7], v[14:15] op_sel:[0,1] op_sel_hi:[1,0]
	v_pk_add_f32 v[2:3], v[6:7], v[14:15] op_sel:[0,1] op_sel_hi:[1,0] neg_lo:[0,1] neg_hi:[0,1]
	v_pk_mul_f32 v[4:5], v[8:9], s[2:3] op_sel_hi:[1,0]
	v_mov_b32_e32 v1, v3
	v_pk_fma_f32 v[2:3], v[6:7], 2.0, v[0:1] op_sel_hi:[1,0,1] neg_lo:[0,0,1] neg_hi:[0,0,1]
	v_pk_fma_f32 v[6:7], v[8:9], s[2:3], v[16:17] op_sel_hi:[1,0,1]
	s_nop 0
	v_pk_add_f32 v[8:9], v[6:7], v[4:5] op_sel:[0,1] op_sel_hi:[1,0]
	v_pk_add_f32 v[4:5], v[6:7], v[4:5] op_sel:[0,1] op_sel_hi:[1,0] neg_lo:[0,1] neg_hi:[0,1]
	v_add_u32_e32 v6, 0x400, v50
	v_mov_b32_e32 v9, v5
	v_pk_fma_f32 v[4:5], v[16:17], 2.0, v[8:9] op_sel_hi:[1,0,1] neg_lo:[0,0,1] neg_hi:[0,0,1]
	ds_write2_b64 v6, v[2:3], v[4:5] offset0:54 offset1:145
	v_add_u32_e32 v2, 0x800, v50
	ds_write2_b64 v2, v[12:13], v[18:19] offset0:108 offset1:199
	v_add_u32_e32 v2, 0x1000, v50
	ds_write2_b64 v2, v[0:1], v[8:9] offset0:34 offset1:125
.LBB0_21:
	s_or_b64 exec, exec, s[0:1]
	s_waitcnt lgkmcnt(0)
	s_barrier
	s_and_b64 exec, exec, s[6:7]
	s_cbranch_execz .LBB0_23
; %bb.22:
	global_load_dwordx2 v[10:11], v50, s[12:13]
	global_load_dwordx2 v[12:13], v50, s[12:13] offset:448
	global_load_dwordx2 v[14:15], v50, s[12:13] offset:896
	;; [unrolled: 1-line block ×3, first 2 shown]
	ds_read_b64 v[18:19], v50
	global_load_dwordx2 v[20:21], v50, s[12:13] offset:1792
	ds_read2_b64 v[2:5], v50 offset0:56 offset1:112
	ds_read2_b64 v[6:9], v50 offset0:168 offset1:224
	global_load_dwordx2 v[26:27], v50, s[12:13] offset:2240
	global_load_dwordx2 v[28:29], v50, s[12:13] offset:2688
	v_mad_u64_u32 v[22:23], s[0:1], s10, v52, 0
	v_mad_u64_u32 v[24:25], s[2:3], s8, v53, 0
	v_mov_b32_e32 v30, v23
	v_mov_b32_e32 v34, v25
	v_mad_u64_u32 v[30:31], s[4:5], s11, v52, v[30:31]
	v_mov_b32_e32 v0, s16
	v_mov_b32_e32 v1, s17
	;; [unrolled: 3-line block ×3, first 2 shown]
	v_lshl_add_u64 v[0:1], v[22:23], 3, v[0:1]
	v_mov_b32_e32 v40, 0x1c0
	v_lshl_add_u64 v[22:23], v[24:25], 3, v[0:1]
	s_mul_i32 s2, s9, 0x1c0
	v_mad_u64_u32 v[24:25], s[4:5], s8, v40, v[22:23]
	s_mov_b32 s0, 0x16816817
	v_add_u32_e32 v25, s2, v25
	s_mov_b32 s1, 0x3f568168
	v_mad_u64_u32 v[30:31], s[4:5], s8, v40, v[24:25]
	v_add_u32_e32 v31, s2, v31
	v_mad_u64_u32 v[34:35], s[4:5], s8, v40, v[30:31]
	v_add_u32_e32 v35, s2, v35
	v_mov_b32_e32 v51, 0
	v_lshl_add_u64 v[32:33], s[12:13], 0, v[50:51]
	s_movk_i32 s3, 0x1000
	s_waitcnt vmcnt(6) lgkmcnt(2)
	v_mul_f32_e32 v36, v19, v11
	v_mul_f32_e32 v11, v18, v11
	s_waitcnt vmcnt(4) lgkmcnt(1)
	v_mul_f32_e32 v38, v5, v15
	v_mul_f32_e32 v15, v4, v15
	v_fmac_f32_e32 v36, v18, v10
	v_fma_f32 v10, v10, v19, -v11
	v_fmac_f32_e32 v38, v4, v14
	v_fma_f32 v18, v14, v5, -v15
	v_cvt_f64_f32_e32 v[4:5], v10
	global_load_dwordx2 v[10:11], v50, s[12:13] offset:3136
	s_waitcnt vmcnt(4) lgkmcnt(0)
	v_mul_f32_e32 v39, v7, v17
	v_mul_f32_e32 v17, v6, v17
	v_fmac_f32_e32 v39, v6, v16
	v_fma_f32 v41, v16, v7, -v17
	v_cvt_f64_f32_e32 v[14:15], v38
	v_cvt_f64_f32_e32 v[16:17], v18
	v_cvt_f64_f32_e32 v[18:19], v39
	global_load_dwordx2 v[38:39], v50, s[12:13] offset:3584
	v_mul_f32_e32 v37, v3, v13
	v_mul_f32_e32 v13, v2, v13
	v_fmac_f32_e32 v37, v2, v12
	v_fma_f32 v12, v12, v3, -v13
	v_cvt_f64_f32_e32 v[2:3], v36
	v_cvt_f64_f32_e32 v[6:7], v37
	;; [unrolled: 1-line block ×4, first 2 shown]
	v_mul_f64 v[2:3], v[2:3], s[0:1]
	v_mul_f64 v[4:5], v[4:5], s[0:1]
	;; [unrolled: 1-line block ×8, first 2 shown]
	v_cvt_f32_f64_e32 v2, v[2:3]
	v_cvt_f32_f64_e32 v3, v[4:5]
	;; [unrolled: 1-line block ×8, first 2 shown]
	global_store_dwordx2 v[22:23], v[2:3], off
	global_store_dwordx2 v[24:25], v[4:5], off
	;; [unrolled: 1-line block ×4, first 2 shown]
	s_waitcnt vmcnt(8)
	v_mul_f32_e32 v2, v9, v21
	v_fmac_f32_e32 v2, v8, v20
	v_cvt_f64_f32_e32 v[2:3], v2
	v_mul_f64 v[2:3], v[2:3], s[0:1]
	v_cvt_f32_f64_e32 v6, v[2:3]
	v_mul_f32_e32 v2, v8, v21
	v_fma_f32 v2, v20, v9, -v2
	global_load_dwordx2 v[8:9], v50, s[12:13] offset:4032
	v_add_co_u32_e32 v14, vcc, s3, v32
	v_cvt_f64_f32_e32 v[2:3], v2
	s_nop 0
	v_addc_co_u32_e32 v15, vcc, 0, v33, vcc
	global_load_dwordx2 v[16:17], v[14:15], off offset:384
	v_mul_f64 v[2:3], v[2:3], s[0:1]
	v_add_u32_e32 v20, 0x800, v50
	v_cvt_f32_f64_e32 v7, v[2:3]
	ds_read2_b64 v[2:5], v20 offset0:24 offset1:80
	v_mad_u64_u32 v[12:13], s[4:5], s8, v40, v[34:35]
	v_add_u32_e32 v13, s2, v13
	global_store_dwordx2 v[12:13], v[6:7], off
	s_waitcnt vmcnt(10) lgkmcnt(0)
	v_mul_f32_e32 v6, v3, v27
	v_fmac_f32_e32 v6, v2, v26
	v_mul_f32_e32 v2, v2, v27
	v_fma_f32 v2, v26, v3, -v2
	v_cvt_f64_f32_e32 v[6:7], v6
	v_cvt_f64_f32_e32 v[2:3], v2
	v_mul_f64 v[6:7], v[6:7], s[0:1]
	v_mul_f64 v[2:3], v[2:3], s[0:1]
	v_mad_u64_u32 v[12:13], s[4:5], s8, v40, v[12:13]
	v_cvt_f32_f64_e32 v6, v[6:7]
	v_cvt_f32_f64_e32 v7, v[2:3]
	v_add_u32_e32 v13, s2, v13
	global_store_dwordx2 v[12:13], v[6:7], off
	global_load_dwordx2 v[6:7], v[14:15], off offset:832
	s_waitcnt vmcnt(11)
	v_mul_f32_e32 v2, v5, v29
	global_load_dwordx2 v[14:15], v[14:15], off offset:1280
	v_fmac_f32_e32 v2, v4, v28
	v_cvt_f64_f32_e32 v[2:3], v2
	v_mul_f64 v[2:3], v[2:3], s[0:1]
	v_cvt_f32_f64_e32 v18, v[2:3]
	v_mul_f32_e32 v2, v4, v29
	v_fma_f32 v2, v28, v5, -v2
	v_cvt_f64_f32_e32 v[2:3], v2
	v_mul_f64 v[2:3], v[2:3], s[0:1]
	v_cvt_f32_f64_e32 v19, v[2:3]
	ds_read2_b64 v[2:5], v20 offset0:136 offset1:192
	v_mad_u64_u32 v[12:13], s[4:5], s8, v40, v[12:13]
	v_add_u32_e32 v13, s2, v13
	global_store_dwordx2 v[12:13], v[18:19], off
	s_waitcnt vmcnt(12) lgkmcnt(0)
	v_mul_f32_e32 v18, v3, v11
	v_fmac_f32_e32 v18, v2, v10
	v_mul_f32_e32 v2, v2, v11
	v_fma_f32 v2, v10, v3, -v2
	v_cvt_f64_f32_e32 v[18:19], v18
	v_cvt_f64_f32_e32 v[2:3], v2
	v_mul_f64 v[18:19], v[18:19], s[0:1]
	v_mul_f64 v[2:3], v[2:3], s[0:1]
	v_cvt_f32_f64_e32 v18, v[18:19]
	v_cvt_f32_f64_e32 v19, v[2:3]
	s_waitcnt vmcnt(11)
	v_mul_f32_e32 v2, v5, v39
	v_fmac_f32_e32 v2, v4, v38
	v_cvt_f64_f32_e32 v[2:3], v2
	v_mul_f64 v[2:3], v[2:3], s[0:1]
	v_mad_u64_u32 v[10:11], s[4:5], s8, v40, v[12:13]
	v_cvt_f32_f64_e32 v12, v[2:3]
	v_mul_f32_e32 v2, v4, v39
	v_fma_f32 v2, v38, v5, -v2
	v_cvt_f64_f32_e32 v[2:3], v2
	v_mul_f64 v[2:3], v[2:3], s[0:1]
	v_add_u32_e32 v11, s2, v11
	v_or_b32_e32 v21, 0x1c0, v53
	v_cvt_f32_f64_e32 v13, v[2:3]
	v_add_u32_e32 v2, 0xc00, v50
	global_store_dwordx2 v[10:11], v[18:19], off
	v_mad_u64_u32 v[18:19], s[4:5], s8, v21, 0
	ds_read2_b64 v[2:5], v2 offset0:120 offset1:176
	v_mov_b32_e32 v20, v19
	v_mad_u64_u32 v[20:21], s[4:5], s9, v21, v[20:21]
	v_mov_b32_e32 v19, v20
	v_lshl_add_u64 v[0:1], v[18:19], 3, v[0:1]
	global_store_dwordx2 v[0:1], v[12:13], off
	s_waitcnt vmcnt(8) lgkmcnt(0)
	v_mul_f32_e32 v0, v3, v9
	v_fmac_f32_e32 v0, v2, v8
	v_cvt_f64_f32_e32 v[0:1], v0
	v_mul_f64 v[0:1], v[0:1], s[0:1]
	v_cvt_f32_f64_e32 v0, v[0:1]
	v_mul_f32_e32 v1, v2, v9
	v_fma_f32 v1, v8, v3, -v1
	v_cvt_f64_f32_e32 v[2:3], v1
	v_mul_f64 v[2:3], v[2:3], s[0:1]
	v_cvt_f32_f64_e32 v1, v[2:3]
	v_mov_b32_e32 v2, 0x380
	v_mad_u64_u32 v[8:9], s[4:5], s8, v2, v[10:11]
	s_mul_i32 s3, s9, 0x380
	v_add_u32_e32 v9, s3, v9
	global_store_dwordx2 v[8:9], v[0:1], off
	s_waitcnt vmcnt(8)
	v_mul_f32_e32 v0, v5, v17
	v_fmac_f32_e32 v0, v4, v16
	v_cvt_f64_f32_e32 v[0:1], v0
	v_mul_f64 v[0:1], v[0:1], s[0:1]
	v_cvt_f32_f64_e32 v10, v[0:1]
	v_mul_f32_e32 v0, v4, v17
	v_fma_f32 v0, v16, v5, -v0
	v_cvt_f64_f32_e32 v[0:1], v0
	v_mul_f64 v[0:1], v[0:1], s[0:1]
	v_cvt_f32_f64_e32 v11, v[0:1]
	v_add_u32_e32 v0, 0x1000, v50
	ds_read2_b64 v[0:3], v0 offset0:104 offset1:160
	v_mad_u64_u32 v[4:5], s[4:5], s8, v40, v[8:9]
	v_add_u32_e32 v5, s2, v5
	global_store_dwordx2 v[4:5], v[10:11], off
	s_waitcnt vmcnt(6) lgkmcnt(0)
	v_mul_f32_e32 v8, v1, v7
	v_fmac_f32_e32 v8, v0, v6
	v_mul_f32_e32 v0, v0, v7
	v_fma_f32 v0, v6, v1, -v0
	v_cvt_f64_f32_e32 v[8:9], v8
	v_cvt_f64_f32_e32 v[0:1], v0
	v_mul_f64 v[8:9], v[8:9], s[0:1]
	v_mul_f64 v[0:1], v[0:1], s[0:1]
	v_cvt_f32_f64_e32 v8, v[8:9]
	v_cvt_f32_f64_e32 v9, v[0:1]
	v_mad_u64_u32 v[0:1], s[4:5], s8, v40, v[4:5]
	s_waitcnt vmcnt(5)
	v_mul_f32_e32 v4, v3, v15
	v_fmac_f32_e32 v4, v2, v14
	v_mul_f32_e32 v2, v2, v15
	v_fma_f32 v2, v14, v3, -v2
	v_add_u32_e32 v1, s2, v1
	v_cvt_f64_f32_e32 v[4:5], v4
	v_cvt_f64_f32_e32 v[2:3], v2
	global_store_dwordx2 v[0:1], v[8:9], off
	v_mul_f64 v[4:5], v[4:5], s[0:1]
	v_mul_f64 v[2:3], v[2:3], s[0:1]
	v_mad_u64_u32 v[0:1], s[0:1], s8, v40, v[0:1]
	v_cvt_f32_f64_e32 v4, v[4:5]
	v_cvt_f32_f64_e32 v5, v[2:3]
	v_add_u32_e32 v1, s2, v1
	global_store_dwordx2 v[0:1], v[4:5], off
.LBB0_23:
	s_endpgm
	.section	.rodata,"a",@progbits
	.p2align	6, 0x0
	.amdhsa_kernel bluestein_single_back_len728_dim1_sp_op_CI_CI
		.amdhsa_group_segment_fixed_size 5824
		.amdhsa_private_segment_fixed_size 0
		.amdhsa_kernarg_size 104
		.amdhsa_user_sgpr_count 2
		.amdhsa_user_sgpr_dispatch_ptr 0
		.amdhsa_user_sgpr_queue_ptr 0
		.amdhsa_user_sgpr_kernarg_segment_ptr 1
		.amdhsa_user_sgpr_dispatch_id 0
		.amdhsa_user_sgpr_kernarg_preload_length 0
		.amdhsa_user_sgpr_kernarg_preload_offset 0
		.amdhsa_user_sgpr_private_segment_size 0
		.amdhsa_uses_dynamic_stack 0
		.amdhsa_enable_private_segment 0
		.amdhsa_system_sgpr_workgroup_id_x 1
		.amdhsa_system_sgpr_workgroup_id_y 0
		.amdhsa_system_sgpr_workgroup_id_z 0
		.amdhsa_system_sgpr_workgroup_info 0
		.amdhsa_system_vgpr_workitem_id 0
		.amdhsa_next_free_vgpr 198
		.amdhsa_next_free_sgpr 60
		.amdhsa_accum_offset 200
		.amdhsa_reserve_vcc 1
		.amdhsa_float_round_mode_32 0
		.amdhsa_float_round_mode_16_64 0
		.amdhsa_float_denorm_mode_32 3
		.amdhsa_float_denorm_mode_16_64 3
		.amdhsa_dx10_clamp 1
		.amdhsa_ieee_mode 1
		.amdhsa_fp16_overflow 0
		.amdhsa_tg_split 0
		.amdhsa_exception_fp_ieee_invalid_op 0
		.amdhsa_exception_fp_denorm_src 0
		.amdhsa_exception_fp_ieee_div_zero 0
		.amdhsa_exception_fp_ieee_overflow 0
		.amdhsa_exception_fp_ieee_underflow 0
		.amdhsa_exception_fp_ieee_inexact 0
		.amdhsa_exception_int_div_zero 0
	.end_amdhsa_kernel
	.text
.Lfunc_end0:
	.size	bluestein_single_back_len728_dim1_sp_op_CI_CI, .Lfunc_end0-bluestein_single_back_len728_dim1_sp_op_CI_CI
                                        ; -- End function
	.section	.AMDGPU.csdata,"",@progbits
; Kernel info:
; codeLenInByte = 11840
; NumSgprs: 66
; NumVgprs: 198
; NumAgprs: 0
; TotalNumVgprs: 198
; ScratchSize: 0
; MemoryBound: 0
; FloatMode: 240
; IeeeMode: 1
; LDSByteSize: 5824 bytes/workgroup (compile time only)
; SGPRBlocks: 8
; VGPRBlocks: 24
; NumSGPRsForWavesPerEU: 66
; NumVGPRsForWavesPerEU: 198
; AccumOffset: 200
; Occupancy: 2
; WaveLimiterHint : 1
; COMPUTE_PGM_RSRC2:SCRATCH_EN: 0
; COMPUTE_PGM_RSRC2:USER_SGPR: 2
; COMPUTE_PGM_RSRC2:TRAP_HANDLER: 0
; COMPUTE_PGM_RSRC2:TGID_X_EN: 1
; COMPUTE_PGM_RSRC2:TGID_Y_EN: 0
; COMPUTE_PGM_RSRC2:TGID_Z_EN: 0
; COMPUTE_PGM_RSRC2:TIDIG_COMP_CNT: 0
; COMPUTE_PGM_RSRC3_GFX90A:ACCUM_OFFSET: 49
; COMPUTE_PGM_RSRC3_GFX90A:TG_SPLIT: 0
	.text
	.p2alignl 6, 3212836864
	.fill 256, 4, 3212836864
	.type	__hip_cuid_747e60cefe9a07a5,@object ; @__hip_cuid_747e60cefe9a07a5
	.section	.bss,"aw",@nobits
	.globl	__hip_cuid_747e60cefe9a07a5
__hip_cuid_747e60cefe9a07a5:
	.byte	0                               ; 0x0
	.size	__hip_cuid_747e60cefe9a07a5, 1

	.ident	"AMD clang version 19.0.0git (https://github.com/RadeonOpenCompute/llvm-project roc-6.4.0 25133 c7fe45cf4b819c5991fe208aaa96edf142730f1d)"
	.section	".note.GNU-stack","",@progbits
	.addrsig
	.addrsig_sym __hip_cuid_747e60cefe9a07a5
	.amdgpu_metadata
---
amdhsa.kernels:
  - .agpr_count:     0
    .args:
      - .actual_access:  read_only
        .address_space:  global
        .offset:         0
        .size:           8
        .value_kind:     global_buffer
      - .actual_access:  read_only
        .address_space:  global
        .offset:         8
        .size:           8
        .value_kind:     global_buffer
      - .actual_access:  read_only
        .address_space:  global
        .offset:         16
        .size:           8
        .value_kind:     global_buffer
      - .actual_access:  read_only
        .address_space:  global
        .offset:         24
        .size:           8
        .value_kind:     global_buffer
      - .actual_access:  read_only
        .address_space:  global
        .offset:         32
        .size:           8
        .value_kind:     global_buffer
      - .offset:         40
        .size:           8
        .value_kind:     by_value
      - .address_space:  global
        .offset:         48
        .size:           8
        .value_kind:     global_buffer
      - .address_space:  global
        .offset:         56
        .size:           8
        .value_kind:     global_buffer
      - .address_space:  global
        .offset:         64
        .size:           8
        .value_kind:     global_buffer
      - .address_space:  global
        .offset:         72
        .size:           8
        .value_kind:     global_buffer
      - .offset:         80
        .size:           4
        .value_kind:     by_value
      - .address_space:  global
        .offset:         88
        .size:           8
        .value_kind:     global_buffer
      - .address_space:  global
        .offset:         96
        .size:           8
        .value_kind:     global_buffer
    .group_segment_fixed_size: 5824
    .kernarg_segment_align: 8
    .kernarg_segment_size: 104
    .language:       OpenCL C
    .language_version:
      - 2
      - 0
    .max_flat_workgroup_size: 104
    .name:           bluestein_single_back_len728_dim1_sp_op_CI_CI
    .private_segment_fixed_size: 0
    .sgpr_count:     66
    .sgpr_spill_count: 0
    .symbol:         bluestein_single_back_len728_dim1_sp_op_CI_CI.kd
    .uniform_work_group_size: 1
    .uses_dynamic_stack: false
    .vgpr_count:     198
    .vgpr_spill_count: 0
    .wavefront_size: 64
amdhsa.target:   amdgcn-amd-amdhsa--gfx950
amdhsa.version:
  - 1
  - 2
...

	.end_amdgpu_metadata
